;; amdgpu-corpus repo=ROCm/rocFFT kind=compiled arch=gfx950 opt=O3
	.text
	.amdgcn_target "amdgcn-amd-amdhsa--gfx950"
	.amdhsa_code_object_version 6
	.protected	bluestein_single_back_len770_dim1_sp_op_CI_CI ; -- Begin function bluestein_single_back_len770_dim1_sp_op_CI_CI
	.globl	bluestein_single_back_len770_dim1_sp_op_CI_CI
	.p2align	8
	.type	bluestein_single_back_len770_dim1_sp_op_CI_CI,@function
bluestein_single_back_len770_dim1_sp_op_CI_CI: ; @bluestein_single_back_len770_dim1_sp_op_CI_CI
; %bb.0:
	s_load_dwordx4 s[12:15], s[0:1], 0x28
	v_mul_u32_u24_e32 v1, 0x254, v0
	v_lshrrev_b32_e32 v1, 16, v1
	v_lshl_add_u32 v52, s2, 1, v1
	v_mov_b32_e32 v53, 0
	s_waitcnt lgkmcnt(0)
	v_cmp_gt_u64_e32 vcc, s[12:13], v[52:53]
	s_and_saveexec_b64 s[2:3], vcc
	s_cbranch_execz .LBB0_23
; %bb.1:
	s_load_dwordx2 s[12:13], s[0:1], 0x0
	s_load_dwordx2 s[16:17], s[0:1], 0x38
	v_mul_lo_u16_e32 v2, 0x6e, v1
	v_sub_u16_e32 v53, v0, v2
	v_and_b32_e32 v0, 1, v1
	v_mov_b32_e32 v1, 0x302
	v_cmp_eq_u32_e32 vcc, 1, v0
	s_movk_i32 s2, 0x45
	s_movk_i32 s4, 0x46
	v_cndmask_b32_e32 v78, 0, v1, vcc
	v_cmp_lt_u16_e64 s[2:3], s2, v53
	v_cmp_gt_u16_e64 s[6:7], s4, v53
	v_lshlrev_b32_e32 v54, 3, v53
	v_lshlrev_b32_e32 v82, 3, v78
	s_and_saveexec_b64 s[4:5], s[6:7]
	s_cbranch_execz .LBB0_3
; %bb.2:
	s_load_dwordx2 s[8:9], s[0:1], 0x18
	v_mov_b32_e32 v0, s14
	v_mov_b32_e32 v1, s15
	;; [unrolled: 1-line block ×4, first 2 shown]
	s_waitcnt lgkmcnt(0)
	s_load_dwordx4 s[8:11], s[8:9], 0x0
	s_waitcnt lgkmcnt(0)
	v_mad_u64_u32 v[2:3], s[14:15], s10, v52, 0
	v_mad_u64_u32 v[4:5], s[14:15], s8, v53, 0
	v_mov_b32_e32 v6, v3
	v_mov_b32_e32 v8, v5
	v_mad_u64_u32 v[6:7], s[10:11], s11, v52, v[6:7]
	v_mov_b32_e32 v3, v6
	v_mad_u64_u32 v[6:7], s[10:11], s9, v53, v[8:9]
	v_mov_b32_e32 v5, v6
	v_lshl_add_u64 v[0:1], v[2:3], 3, v[0:1]
	v_lshl_add_u64 v[0:1], v[4:5], 3, v[0:1]
	global_load_dwordx2 v[2:3], v[0:1], off
	v_mad_u64_u32 v[0:1], s[10:11], s8, v44, v[0:1]
	s_mul_i32 s14, s9, 0x230
	v_add_u32_e32 v1, s14, v1
	v_mad_u64_u32 v[8:9], s[10:11], s8, v44, v[0:1]
	v_add_u32_e32 v9, s14, v9
	v_mad_u64_u32 v[14:15], s[10:11], s8, v44, v[8:9]
	;; [unrolled: 2-line block ×3, first 2 shown]
	v_add_u32_e32 v17, s14, v17
	global_load_dwordx2 v[6:7], v54, s[12:13]
	global_load_dwordx2 v[10:11], v54, s[12:13] offset:560
	global_load_dwordx2 v[12:13], v54, s[12:13] offset:1120
	v_lshl_add_u64 v[4:5], s[12:13], 0, v[54:55]
	global_load_dwordx2 v[0:1], v[0:1], off
	s_nop 0
	global_load_dwordx2 v[18:19], v[8:9], off
	global_load_dwordx2 v[20:21], v[14:15], off
	;; [unrolled: 1-line block ×3, first 2 shown]
	global_load_dwordx2 v[24:25], v54, s[12:13] offset:1680
	global_load_dwordx2 v[26:27], v54, s[12:13] offset:2240
	v_mad_u64_u32 v[8:9], s[10:11], s8, v44, v[16:17]
	v_add_u32_e32 v9, s14, v9
	global_load_dwordx2 v[14:15], v[8:9], off
	v_mad_u64_u32 v[8:9], s[10:11], s8, v44, v[8:9]
	v_add_u32_e32 v9, s14, v9
	global_load_dwordx2 v[16:17], v[8:9], off
	v_mad_u64_u32 v[8:9], s[10:11], s8, v44, v[8:9]
	v_add_u32_e32 v9, s14, v9
	global_load_dwordx2 v[28:29], v54, s[12:13] offset:2800
	global_load_dwordx2 v[30:31], v[8:9], off
	global_load_dwordx2 v[32:33], v54, s[12:13] offset:3360
	global_load_dwordx2 v[34:35], v54, s[12:13] offset:3920
	v_mad_u64_u32 v[8:9], s[10:11], s8, v44, v[8:9]
	s_movk_i32 s9, 0x1000
	v_add_u32_e32 v9, s14, v9
	v_add_co_u32_e32 v4, vcc, s9, v4
	global_load_dwordx2 v[36:37], v[8:9], off
	s_nop 0
	v_addc_co_u32_e32 v5, vcc, 0, v5, vcc
	v_mad_u64_u32 v[8:9], s[10:11], s8, v44, v[8:9]
	global_load_dwordx2 v[38:39], v[4:5], off offset:384
	v_add_u32_e32 v9, s14, v9
	global_load_dwordx2 v[40:41], v[8:9], off
	global_load_dwordx2 v[42:43], v[4:5], off offset:944
	v_mad_u64_u32 v[8:9], s[8:9], s8, v44, v[8:9]
	v_add_u32_e32 v9, s14, v9
	global_load_dwordx2 v[44:45], v[4:5], off offset:1504
	global_load_dwordx2 v[46:47], v[8:9], off
	v_lshl_add_u32 v8, v53, 3, v82
	v_add_u32_e32 v9, v82, v54
	v_add_u32_e32 v48, 0x400, v9
	s_waitcnt vmcnt(20)
	v_mul_f32_e32 v4, v3, v7
	v_mul_f32_e32 v5, v2, v7
	v_fmac_f32_e32 v4, v2, v6
	v_fma_f32 v5, v3, v6, -v5
	s_waitcnt vmcnt(17)
	v_mul_f32_e32 v2, v1, v11
	v_mul_f32_e32 v3, v0, v11
	v_fmac_f32_e32 v2, v0, v10
	v_fma_f32 v3, v1, v10, -v3
	;; [unrolled: 5-line block ×3, first 2 shown]
	ds_write_b64 v8, v[4:5]
	ds_write2_b64 v9, v[2:3], v[0:1] offset0:70 offset1:140
	s_waitcnt vmcnt(13)
	v_mul_f32_e32 v0, v21, v25
	v_mul_f32_e32 v1, v20, v25
	s_waitcnt vmcnt(12)
	v_mul_f32_e32 v2, v23, v27
	v_mul_f32_e32 v3, v22, v27
	v_fmac_f32_e32 v0, v20, v24
	v_fma_f32 v1, v21, v24, -v1
	v_fmac_f32_e32 v2, v22, v26
	v_fma_f32 v3, v23, v26, -v3
	ds_write2_b64 v48, v[0:1], v[2:3] offset0:82 offset1:152
	s_waitcnt vmcnt(9)
	v_mul_f32_e32 v0, v15, v29
	v_mul_f32_e32 v1, v14, v29
	s_waitcnt vmcnt(7)
	v_mul_f32_e32 v2, v17, v33
	v_mul_f32_e32 v3, v16, v33
	v_fmac_f32_e32 v0, v14, v28
	v_fma_f32 v1, v15, v28, -v1
	v_fmac_f32_e32 v2, v16, v32
	v_fma_f32 v3, v17, v32, -v3
	v_add_u32_e32 v4, 0x800, v9
	ds_write2_b64 v4, v[0:1], v[2:3] offset0:94 offset1:164
	s_waitcnt vmcnt(6)
	v_mul_f32_e32 v0, v31, v35
	v_mul_f32_e32 v1, v30, v35
	s_waitcnt vmcnt(4)
	v_mul_f32_e32 v2, v37, v39
	v_mul_f32_e32 v3, v36, v39
	v_fmac_f32_e32 v0, v30, v34
	v_fma_f32 v1, v31, v34, -v1
	v_fmac_f32_e32 v2, v36, v38
	v_fma_f32 v3, v37, v38, -v3
	v_add_u32_e32 v4, 0xc00, v9
	;; [unrolled: 12-line block ×3, first 2 shown]
	ds_write2_b64 v4, v[0:1], v[2:3] offset0:118 offset1:188
.LBB0_3:
	s_or_b64 exec, exec, s[4:5]
	v_mov_b64_e32 v[0:1], 0
	s_waitcnt lgkmcnt(0)
	s_barrier
	s_waitcnt lgkmcnt(0)
                                        ; implicit-def: $vgpr20
                                        ; implicit-def: $vgpr6
                                        ; implicit-def: $vgpr10
                                        ; implicit-def: $vgpr14
                                        ; implicit-def: $vgpr18
	s_and_saveexec_b64 s[4:5], s[6:7]
	s_cbranch_execz .LBB0_5
; %bb.4:
	v_lshl_add_u32 v20, v78, 3, v54
	v_add_u32_e32 v4, 0x800, v20
	ds_read2_b64 v[0:3], v20 offset1:70
	ds_read2_b64 v[16:19], v20 offset0:140 offset1:210
	ds_read2_b64 v[12:15], v4 offset0:24 offset1:94
	;; [unrolled: 1-line block ×3, first 2 shown]
	v_add_u32_e32 v4, 0x1000, v20
	ds_read2_b64 v[4:7], v4 offset0:48 offset1:118
	ds_read_b64 v[20:21], v20 offset:5600
.LBB0_5:
	s_or_b64 exec, exec, s[4:5]
	s_waitcnt lgkmcnt(0)
	v_pk_add_f32 v[36:37], v[20:21], v[2:3]
	v_pk_add_f32 v[22:23], v[2:3], v[20:21] neg_lo:[0,1] neg_hi:[0,1]
	v_pk_add_f32 v[2:3], v[2:3], v[0:1]
	s_mov_b32 s10, 0xbf0a6770
	v_pk_add_f32 v[2:3], v[16:17], v[2:3]
	s_mov_b32 s11, 0x3f575c64
	v_pk_add_f32 v[2:3], v[18:19], v[2:3]
	v_pk_add_f32 v[34:35], v[6:7], v[16:17]
	;; [unrolled: 1-line block ×3, first 2 shown]
	v_pk_add_f32 v[24:25], v[16:17], v[6:7] neg_lo:[0,1] neg_hi:[0,1]
	v_pk_add_f32 v[2:3], v[14:15], v[2:3]
	s_mov_b32 s26, s11
	v_pk_add_f32 v[2:3], v[8:9], v[2:3]
	s_mov_b32 s27, s10
	v_pk_add_f32 v[2:3], v[10:11], v[2:3]
	v_pk_add_f32 v[28:29], v[10:11], v[12:13]
	;; [unrolled: 1-line block ×3, first 2 shown]
	v_pk_add_f32 v[42:43], v[12:13], v[10:11] neg_lo:[0,1] neg_hi:[0,1]
	v_pk_add_f32 v[2:3], v[6:7], v[2:3]
	v_pk_add_f32 v[32:33], v[4:5], v[18:19]
	;; [unrolled: 1-line block ×3, first 2 shown]
	v_mov_b32_e32 v3, v37
	v_mov_b32_e32 v37, v22
	;; [unrolled: 1-line block ×3, first 2 shown]
	v_pk_mul_f32 v[10:11], v[36:37], s[26:27]
	v_pk_add_f32 v[26:27], v[18:19], v[4:5] neg_lo:[0,1] neg_hi:[0,1]
	v_pk_add_f32 v[30:31], v[14:15], v[8:9] neg_lo:[0,1] neg_hi:[0,1]
	v_pk_add_f32 v[50:51], v[14:15], v[8:9]
	v_pk_fma_f32 v[4:5], v[2:3], s[10:11], v[10:11] neg_lo:[1,0,0] neg_hi:[1,0,0]
	v_pk_fma_f32 v[8:9], v[2:3], s[10:11], v[10:11]
	s_mov_b32 s9, 0x3ed4b147
	v_mov_b32_e32 v5, v9
	s_mov_b32 s8, 0xbf68dda4
	v_pk_add_f32 v[6:7], v[4:5], v[0:1]
	v_mov_b32_e32 v5, v35
	v_mov_b32_e32 v35, v24
	s_mov_b32 s28, s9
	s_mov_b32 s29, s8
	v_mov_b32_e32 v4, v25
	v_pk_mul_f32 v[20:21], v[34:35], s[28:29]
	s_mov_b32 s18, 0xbf7d64f0
	v_pk_fma_f32 v[12:13], v[4:5], s[8:9], v[20:21] neg_lo:[1,0,0] neg_hi:[1,0,0]
	v_pk_fma_f32 v[14:15], v[4:5], s[8:9], v[20:21]
	s_mov_b32 s19, 0xbe11bafb
	v_mov_b32_e32 v13, v15
	v_pk_add_f32 v[12:13], v[12:13], v[6:7]
	v_mov_b32_e32 v7, v33
	v_mov_b32_e32 v33, v26
	s_mov_b32 s22, s19
	s_mov_b32 s23, s18
	v_mov_b32_e32 v6, v27
	v_pk_mul_f32 v[38:39], v[32:33], s[22:23]
	s_mov_b32 s20, 0xbf4178ce
	v_pk_fma_f32 v[18:19], v[6:7], s[18:19], v[38:39] neg_lo:[1,0,0] neg_hi:[1,0,0]
	v_pk_fma_f32 v[40:41], v[6:7], s[18:19], v[38:39]
	s_mov_b32 s21, 0xbf27a4f4
	v_mov_b32_e32 v19, v41
	v_pk_add_f32 v[18:19], v[18:19], v[12:13]
	v_mov_b32_e32 v13, v29
	v_mov_b32_e32 v29, v42
	s_mov_b32 s24, s21
	s_mov_b32 s25, s20
	s_mov_b32 s4, 0xbe903f40
	v_mov_b32_e32 v12, v43
	v_pk_mul_f32 v[42:43], v[28:29], s[24:25]
	s_mov_b32 s14, 0xbf75a155
	v_pk_mul_f32 v[48:49], v[30:31], s[4:5] op_sel:[1,0] op_sel_hi:[0,0]
	v_pk_fma_f32 v[22:23], v[12:13], s[20:21], v[42:43] neg_lo:[1,0,0] neg_hi:[1,0,0]
	v_pk_fma_f32 v[44:45], v[12:13], s[20:21], v[42:43]
	v_pk_fma_f32 v[46:47], v[50:51], s[14:15], v[48:49] op_sel_hi:[1,0,1] neg_lo:[0,0,1] neg_hi:[0,0,1]
	v_mov_b32_e32 v23, v45
	v_pk_fma_f32 v[48:49], v[50:51], s[14:15], v[48:49] op_sel_hi:[1,0,1]
	v_pk_add_f32 v[18:19], v[22:23], v[18:19]
	v_mov_b32_e32 v22, v46
	v_mov_b32_e32 v23, v49
	v_pk_add_f32 v[18:19], v[22:23], v[18:19]
	v_pk_mul_f32 v[22:23], v[36:37], s[28:29]
	v_pk_mul_f32 v[56:57], v[34:35], s[24:25]
	v_pk_fma_f32 v[24:25], v[2:3], s[8:9], v[22:23] neg_lo:[1,0,0] neg_hi:[1,0,0]
	v_pk_fma_f32 v[26:27], v[2:3], s[8:9], v[22:23]
	v_pk_fma_f32 v[58:59], v[4:5], s[20:21], v[56:57] neg_lo:[1,0,0] neg_hi:[1,0,0]
	v_mov_b32_e32 v25, v27
	v_pk_fma_f32 v[60:61], v[4:5], s[20:21], v[56:57]
	s_mov_b32 s38, 0x3e903f40
	v_mov_b32_e32 v59, v61
	v_pk_add_f32 v[24:25], v[24:25], v[0:1]
	s_mov_b32 s15, s38
	v_pk_add_f32 v[24:25], v[58:59], v[24:25]
	s_mov_b32 s39, s14
	v_pk_mul_f32 v[58:59], v[32:33], s[14:15]
	s_mov_b32 s28, 0x3f7d64f0
	v_pk_fma_f32 v[62:63], v[6:7], s[38:39], v[58:59] neg_lo:[1,0,0] neg_hi:[1,0,0]
	v_pk_fma_f32 v[64:65], v[6:7], s[38:39], v[58:59]
	s_mov_b32 s36, s19
	v_mov_b32_e32 v63, v65
	s_mov_b32 s37, s28
	v_pk_add_f32 v[24:25], v[62:63], v[24:25]
	s_mov_b32 s29, s19
	v_pk_mul_f32 v[62:63], v[28:29], s[36:37]
	v_pk_mul_f32 v[74:75], v[34:35], s[14:15]
	v_pk_fma_f32 v[66:67], v[12:13], s[28:29], v[62:63] neg_lo:[1,0,0] neg_hi:[1,0,0]
	v_pk_fma_f32 v[68:69], v[12:13], s[28:29], v[62:63]
	v_pk_fma_f32 v[76:77], v[4:5], s[38:39], v[74:75] neg_lo:[1,0,0] neg_hi:[1,0,0]
	v_mov_b32_e32 v67, v69
	v_pk_add_f32 v[24:25], v[66:67], v[24:25]
	v_pk_mul_f32 v[66:67], v[36:37], s[22:23]
	v_pk_fma_f32 v[80:81], v[4:5], s[38:39], v[74:75]
	v_pk_fma_f32 v[70:71], v[2:3], s[18:19], v[66:67] neg_lo:[1,0,0] neg_hi:[1,0,0]
	v_pk_fma_f32 v[72:73], v[2:3], s[18:19], v[66:67]
	v_mov_b32_e32 v77, v81
	v_mov_b32_e32 v71, v73
	v_pk_add_f32 v[70:71], v[70:71], v[0:1]
	v_pk_fma_f32 v[84:85], v[2:3], s[8:9], v[22:23] neg_lo:[0,0,1] neg_hi:[0,0,1]
	v_pk_add_f32 v[70:71], v[76:77], v[70:71]
	v_pk_fma_f32 v[76:77], v[4:5], s[8:9], v[20:21] neg_lo:[0,0,1] neg_hi:[0,0,1]
	s_mov_b32 s8, 0x3f68dda4
	s_mov_b32 s34, s9
	;; [unrolled: 1-line block ×3, first 2 shown]
	v_pk_mul_f32 v[86:87], v[32:33], s[34:35]
	s_mov_b32 s30, 0x3f0a6770
	v_pk_fma_f32 v[20:21], v[6:7], s[8:9], v[86:87] neg_lo:[1,0,0] neg_hi:[1,0,0]
	v_pk_fma_f32 v[88:89], v[6:7], s[8:9], v[86:87]
	v_pk_fma_f32 v[56:57], v[4:5], s[20:21], v[56:57] neg_lo:[0,0,1] neg_hi:[0,0,1]
	v_mov_b32_e32 v21, v89
	v_pk_add_f32 v[20:21], v[20:21], v[70:71]
	v_pk_mul_f32 v[70:71], v[28:29], s[26:27]
	v_mov_b32_e32 v92, v50
	v_pk_fma_f32 v[22:23], v[12:13], s[10:11], v[70:71] neg_lo:[1,0,0] neg_hi:[1,0,0]
	v_pk_fma_f32 v[90:91], v[12:13], s[10:11], v[70:71]
	v_mov_b32_e32 v93, v30
	s_mov_b32 s40, s11
	s_mov_b32 s41, s30
	v_mov_b32_e32 v61, v57
	v_pk_fma_f32 v[56:57], v[6:7], s[38:39], v[58:59] neg_lo:[0,0,1] neg_hi:[0,0,1]
	v_mov_b32_e32 v23, v91
	v_mov_b32_e32 v50, v31
	s_mov_b32 s31, s11
	v_pk_mul_f32 v[94:95], v[92:93], s[40:41]
	v_mov_b32_e32 v65, v57
	v_pk_fma_f32 v[56:57], v[12:13], s[28:29], v[62:63] neg_lo:[0,0,1] neg_hi:[0,0,1]
	v_pk_add_f32 v[22:23], v[22:23], v[20:21]
	v_pk_fma_f32 v[20:21], v[30:31], s[30:31], v[94:95] op_sel:[1,0,0] neg_lo:[1,0,0] neg_hi:[1,0,0]
	v_pk_fma_f32 v[96:97], v[50:51], s[30:31], v[94:95]
	v_mov_b32_e32 v69, v57
	v_pk_fma_f32 v[56:57], v[50:51], s[30:31], v[94:95] neg_lo:[0,0,1] neg_hi:[0,0,1]
	v_mov_b32_e32 v21, v97
	v_mov_b32_e32 v97, v57
	v_pk_fma_f32 v[56:57], v[2:3], s[18:19], v[66:67] neg_lo:[0,0,1] neg_hi:[0,0,1]
	v_pk_add_f32 v[20:21], v[20:21], v[24:25]
	v_mov_b32_e32 v73, v57
	v_pk_fma_f32 v[56:57], v[4:5], s[38:39], v[74:75] neg_lo:[0,0,1] neg_hi:[0,0,1]
	v_pk_mul_f32 v[24:25], v[92:93], s[24:25]
	v_mov_b32_e32 v81, v57
	v_pk_fma_f32 v[56:57], v[6:7], s[8:9], v[86:87] neg_lo:[0,0,1] neg_hi:[0,0,1]
	v_pk_fma_f32 v[98:99], v[30:31], s[20:21], v[24:25] op_sel:[1,0,0] neg_lo:[1,0,0] neg_hi:[1,0,0]
	v_mov_b32_e32 v89, v57
	v_pk_fma_f32 v[56:57], v[12:13], s[10:11], v[70:71] neg_lo:[0,0,1] neg_hi:[0,0,1]
	v_pk_fma_f32 v[100:101], v[50:51], s[20:21], v[24:25]
	v_mov_b32_e32 v91, v57
	v_pk_add_f32 v[56:57], v[72:73], v[0:1]
	v_pk_fma_f32 v[24:25], v[50:51], s[20:21], v[24:25] neg_lo:[0,0,1] neg_hi:[0,0,1]
	v_pk_add_f32 v[56:57], v[80:81], v[56:57]
	v_mov_b32_e32 v99, v101
	v_pk_add_f32 v[56:57], v[88:89], v[56:57]
	v_mov_b32_e32 v27, v85
	;; [unrolled: 2-line block ×3, first 2 shown]
	v_pk_add_f32 v[26:27], v[26:27], v[0:1]
	v_pk_add_f32 v[24:25], v[100:101], v[56:57]
	v_pk_mul_f32 v[56:57], v[36:37], s[24:25]
	v_pk_add_f32 v[26:27], v[60:61], v[26:27]
	v_pk_fma_f32 v[58:59], v[2:3], s[20:21], v[56:57] neg_lo:[1,0,0] neg_hi:[1,0,0]
	v_pk_fma_f32 v[60:61], v[2:3], s[20:21], v[56:57]
	v_pk_mul_f32 v[62:63], v[34:35], s[36:37]
	v_pk_add_f32 v[26:27], v[64:65], v[26:27]
	v_mov_b32_e32 v59, v61
	v_pk_fma_f32 v[64:65], v[4:5], s[28:29], v[62:63] neg_lo:[1,0,0] neg_hi:[1,0,0]
	v_pk_fma_f32 v[66:67], v[4:5], s[28:29], v[62:63]
	v_pk_add_f32 v[58:59], v[58:59], v[0:1]
	v_mov_b32_e32 v65, v67
	v_pk_add_f32 v[58:59], v[64:65], v[58:59]
	v_pk_mul_f32 v[64:65], v[32:33], s[26:27]
	v_pk_add_f32 v[26:27], v[68:69], v[26:27]
	v_pk_fma_f32 v[68:69], v[6:7], s[10:11], v[64:65] neg_lo:[1,0,0] neg_hi:[1,0,0]
	v_pk_fma_f32 v[70:71], v[6:7], s[10:11], v[64:65]
	s_mov_b32 s15, s4
	v_mov_b32_e32 v69, v71
	v_pk_add_f32 v[58:59], v[68:69], v[58:59]
	s_mov_b32 s5, s14
	v_pk_mul_f32 v[68:69], v[28:29], s[14:15]
	v_pk_mul_f32 v[36:37], v[36:37], s[14:15]
	v_pk_fma_f32 v[72:73], v[12:13], s[4:5], v[68:69] neg_lo:[1,0,0] neg_hi:[1,0,0]
	v_pk_fma_f32 v[74:75], v[12:13], s[4:5], v[68:69]
	v_pk_fma_f32 v[10:11], v[2:3], s[10:11], v[10:11] neg_lo:[0,0,1] neg_hi:[0,0,1]
	v_mov_b32_e32 v73, v75
	v_pk_add_f32 v[58:59], v[72:73], v[58:59]
	v_pk_fma_f32 v[72:73], v[2:3], s[4:5], v[36:37] neg_lo:[1,0,0] neg_hi:[1,0,0]
	v_pk_fma_f32 v[80:81], v[2:3], s[4:5], v[36:37]
	v_pk_mul_f32 v[84:85], v[34:35], s[40:41]
	v_mov_b32_e32 v9, v11
	v_mov_b32_e32 v73, v81
	v_pk_fma_f32 v[34:35], v[4:5], s[30:31], v[84:85] neg_lo:[1,0,0] neg_hi:[1,0,0]
	v_pk_fma_f32 v[86:87], v[4:5], s[30:31], v[84:85]
	v_mov_b32_e32 v15, v77
	v_pk_add_f32 v[8:9], v[8:9], v[0:1]
	v_pk_fma_f32 v[10:11], v[6:7], s[18:19], v[38:39] neg_lo:[0,0,1] neg_hi:[0,0,1]
	v_mov_b32_e32 v35, v87
	v_pk_add_f32 v[72:73], v[72:73], v[0:1]
	v_pk_mul_f32 v[32:33], v[32:33], s[24:25]
	v_pk_add_f32 v[8:9], v[14:15], v[8:9]
	v_mov_b32_e32 v41, v11
	v_pk_fma_f32 v[10:11], v[12:13], s[20:21], v[42:43] neg_lo:[0,0,1] neg_hi:[0,0,1]
	v_pk_add_f32 v[34:35], v[34:35], v[72:73]
	v_pk_fma_f32 v[72:73], v[6:7], s[20:21], v[32:33] neg_lo:[1,0,0] neg_hi:[1,0,0]
	v_pk_fma_f32 v[88:89], v[6:7], s[20:21], v[32:33]
	v_pk_add_f32 v[8:9], v[40:41], v[8:9]
	v_mov_b32_e32 v45, v11
	v_mov_b32_e32 v73, v89
	v_pk_add_f32 v[8:9], v[44:45], v[8:9]
	v_mov_b32_e32 v49, v47
	v_pk_add_f32 v[34:35], v[72:73], v[34:35]
	v_pk_mul_f32 v[72:73], v[28:29], s[34:35]
	v_pk_add_f32 v[48:49], v[48:49], v[8:9]
	v_pk_fma_f32 v[8:9], v[2:3], s[20:21], v[56:57] neg_lo:[0,0,1] neg_hi:[0,0,1]
	v_pk_fma_f32 v[28:29], v[12:13], s[8:9], v[72:73] neg_lo:[1,0,0] neg_hi:[1,0,0]
	v_pk_fma_f32 v[90:91], v[12:13], s[8:9], v[72:73]
	v_mov_b32_e32 v61, v9
	v_pk_fma_f32 v[8:9], v[4:5], s[28:29], v[62:63] neg_lo:[0,0,1] neg_hi:[0,0,1]
	v_mov_b32_e32 v29, v91
	v_pk_mul_f32 v[94:95], v[92:93], s[34:35]
	v_mov_b32_e32 v67, v9
	v_pk_fma_f32 v[8:9], v[6:7], s[10:11], v[64:65] neg_lo:[0,0,1] neg_hi:[0,0,1]
	v_pk_fma_f32 v[2:3], v[2:3], s[4:5], v[36:37] neg_lo:[0,0,1] neg_hi:[0,0,1]
	v_pk_add_f32 v[26:27], v[96:97], v[26:27]
	v_pk_add_f32 v[34:35], v[28:29], v[34:35]
	v_pk_fma_f32 v[28:29], v[30:31], s[8:9], v[94:95] op_sel:[1,0,0] neg_lo:[1,0,0] neg_hi:[1,0,0]
	v_pk_fma_f32 v[96:97], v[50:51], s[8:9], v[94:95]
	v_mov_b32_e32 v71, v9
	v_pk_fma_f32 v[8:9], v[12:13], s[4:5], v[68:69] neg_lo:[0,0,1] neg_hi:[0,0,1]
	v_mov_b32_e32 v81, v3
	v_pk_fma_f32 v[2:3], v[4:5], s[30:31], v[84:85] neg_lo:[0,0,1] neg_hi:[0,0,1]
	v_mov_b32_e32 v29, v97
	v_mov_b32_e32 v75, v9
	v_pk_add_f32 v[8:9], v[60:61], v[0:1]
	s_load_dwordx2 s[14:15], s[0:1], 0x8
	v_mov_b32_e32 v87, v3
	v_pk_fma_f32 v[2:3], v[6:7], s[20:21], v[32:33] neg_lo:[0,0,1] neg_hi:[0,0,1]
	v_pk_add_f32 v[0:1], v[80:81], v[0:1]
	v_pk_add_f32 v[28:29], v[28:29], v[58:59]
	v_pk_mul_f32 v[58:59], v[92:93], s[22:23]
	v_pk_add_f32 v[8:9], v[66:67], v[8:9]
	v_mov_b32_e32 v89, v3
	v_pk_fma_f32 v[2:3], v[12:13], s[8:9], v[72:73] neg_lo:[0,0,1] neg_hi:[0,0,1]
	v_pk_add_f32 v[0:1], v[86:87], v[0:1]
	v_pk_fma_f32 v[30:31], v[30:31], s[18:19], v[58:59] op_sel:[1,0,0] neg_lo:[1,0,0] neg_hi:[1,0,0]
	v_pk_fma_f32 v[92:93], v[50:51], s[18:19], v[58:59]
	v_pk_add_f32 v[8:9], v[70:71], v[8:9]
	v_pk_fma_f32 v[10:11], v[50:51], s[8:9], v[94:95] neg_lo:[0,0,1] neg_hi:[0,0,1]
	v_mov_b32_e32 v91, v3
	v_pk_add_f32 v[0:1], v[88:89], v[0:1]
	v_pk_fma_f32 v[2:3], v[50:51], s[18:19], v[58:59] neg_lo:[0,0,1] neg_hi:[0,0,1]
	v_mov_b32_e32 v31, v93
	v_pk_add_f32 v[8:9], v[74:75], v[8:9]
	v_mov_b32_e32 v97, v11
	v_pk_add_f32 v[0:1], v[90:91], v[0:1]
	v_mov_b32_e32 v93, v3
	v_pk_add_f32 v[22:23], v[98:99], v[22:23]
	v_pk_add_f32 v[30:31], v[30:31], v[34:35]
	v_pk_add_f32 v[34:35], v[96:97], v[8:9]
	;; [unrolled: 1-line block ×3, first 2 shown]
	v_mul_lo_u16_e32 v85, 11, v53
	s_waitcnt lgkmcnt(0)
	s_barrier
	s_and_saveexec_b64 s[4:5], s[6:7]
	s_cbranch_execz .LBB0_7
; %bb.6:
	v_add_lshl_u32 v0, v78, v85, 3
	ds_write2_b64 v0, v[16:17], v[18:19] offset1:1
	ds_write2_b64 v0, v[20:21], v[22:23] offset0:2 offset1:3
	ds_write2_b64 v0, v[28:29], v[30:31] offset0:4 offset1:5
	;; [unrolled: 1-line block ×4, first 2 shown]
	ds_write_b64 v0, v[48:49] offset:80
.LBB0_7:
	s_or_b64 exec, exec, s[4:5]
	s_load_dwordx2 s[0:1], s[0:1], 0x20
	s_movk_i32 s4, 0x4d
	v_cmp_gt_u16_e64 s[4:5], s4, v53
	v_add_lshl_u32 v83, v78, v53, 3
	s_waitcnt lgkmcnt(0)
	s_barrier
	s_and_saveexec_b64 s[8:9], s[4:5]
	s_cbranch_execz .LBB0_9
; %bb.8:
	v_add_u32_e32 v0, 0x800, v83
	ds_read2_b64 v[16:19], v83 offset1:77
	ds_read2_b64 v[20:23], v83 offset0:154 offset1:231
	ds_read2_b64 v[28:31], v0 offset0:52 offset1:129
	v_add_u32_e32 v0, 0xc00, v83
	ds_read2_b64 v[32:35], v0 offset0:78 offset1:155
	v_add_u32_e32 v0, 0x1000, v83
	ds_read2_b64 v[24:27], v0 offset0:104 offset1:181
.LBB0_9:
	s_or_b64 exec, exec, s[8:9]
	s_movk_i32 s8, 0x75
	v_mul_lo_u16_sdwa v0, v53, s8 dst_sel:DWORD dst_unused:UNUSED_PAD src0_sel:BYTE_0 src1_sel:DWORD
	v_sub_u16_sdwa v1, v53, v0 dst_sel:DWORD dst_unused:UNUSED_PAD src0_sel:DWORD src1_sel:BYTE_1
	v_lshrrev_b16_e32 v1, 1, v1
	v_and_b32_e32 v1, 0x7f, v1
	v_add_u16_sdwa v0, v1, v0 dst_sel:DWORD dst_unused:UNUSED_PAD src0_sel:DWORD src1_sel:BYTE_1
	v_lshrrev_b16_e32 v86, 3, v0
	v_mul_lo_u16_e32 v0, 11, v86
	v_sub_u16_e32 v0, v53, v0
	v_and_b32_e32 v87, 0xff, v0
	s_movk_i32 s8, 0x48
	v_mov_b64_e32 v[0:1], s[14:15]
	v_mad_u64_u32 v[36:37], s[8:9], v87, s8, v[0:1]
	global_load_dwordx4 v[0:3], v[36:37], off
	global_load_dwordx4 v[12:15], v[36:37], off offset:16
	global_load_dwordx4 v[8:11], v[36:37], off offset:32
	;; [unrolled: 1-line block ×3, first 2 shown]
	global_load_dwordx2 v[56:57], v[36:37], off offset:64
	s_waitcnt lgkmcnt(4)
	v_mov_b32_e32 v36, v19
	s_waitcnt lgkmcnt(3)
	v_mov_b32_e32 v38, v21
	v_mov_b32_e32 v40, v23
	s_waitcnt lgkmcnt(2)
	v_mov_b32_e32 v42, v29
	;; [unrolled: 3-line block ×4, first 2 shown]
	v_mov_b32_e32 v60, v27
	s_mov_b32 s18, 0x3f737871
	s_mov_b32 s8, 0x3f167918
	;; [unrolled: 1-line block ×5, first 2 shown]
	s_barrier
	s_waitcnt vmcnt(4)
	v_pk_mul_f32 v[36:37], v[36:37], v[0:1] op_sel_hi:[0,1]
	v_pk_mul_f32 v[38:39], v[38:39], v[2:3] op_sel_hi:[0,1]
	s_waitcnt vmcnt(3)
	v_pk_mul_f32 v[62:63], v[40:41], v[12:13] op_sel_hi:[0,1]
	v_pk_mul_f32 v[64:65], v[42:43], v[14:15] op_sel_hi:[0,1]
	;; [unrolled: 3-line block ×4, first 2 shown]
	s_waitcnt vmcnt(0)
	v_pk_mul_f32 v[60:61], v[60:61], v[56:57] op_sel_hi:[0,1]
	v_pk_fma_f32 v[40:41], v[18:19], v[0:1], v[36:37] op_sel:[0,0,1] op_sel_hi:[1,1,0] neg_lo:[0,0,1] neg_hi:[0,0,1]
	v_pk_fma_f32 v[36:37], v[18:19], v[0:1], v[36:37] op_sel:[0,0,1] op_sel_hi:[0,1,0]
	v_pk_fma_f32 v[42:43], v[20:21], v[2:3], v[38:39] op_sel:[0,0,1] op_sel_hi:[1,1,0] neg_lo:[0,0,1] neg_hi:[0,0,1]
	v_pk_fma_f32 v[38:39], v[20:21], v[2:3], v[38:39] op_sel:[0,0,1] op_sel_hi:[0,1,0]
	;; [unrolled: 2-line block ×9, first 2 shown]
	v_mov_b32_e32 v43, v39
	v_mov_b32_e32 v33, v51
	;; [unrolled: 1-line block ×7, first 2 shown]
	v_pk_add_f32 v[36:37], v[42:43], v[32:33]
	v_mov_b32_e32 v21, v45
	v_mov_b32_e32 v29, v35
	v_pk_add_f32 v[26:27], v[22:23], v[30:31] neg_lo:[0,1] neg_hi:[0,1]
	v_pk_add_f32 v[38:39], v[22:23], v[42:43] neg_lo:[0,1] neg_hi:[0,1]
	v_pk_add_f32 v[44:45], v[30:31], v[32:33] neg_lo:[0,1] neg_hi:[0,1]
	v_pk_add_f32 v[46:47], v[18:19], v[24:25]
	v_pk_add_f32 v[62:63], v[22:23], v[30:31]
	v_pk_fma_f32 v[36:37], v[36:37], 0.5, v[16:17] op_sel_hi:[1,0,1] neg_lo:[1,0,0] neg_hi:[1,0,0]
	v_pk_add_f32 v[34:35], v[42:43], v[32:33] neg_lo:[0,1] neg_hi:[0,1]
	v_pk_add_f32 v[58:59], v[20:21], v[18:19] neg_lo:[0,1] neg_hi:[0,1]
	;; [unrolled: 1-line block ×3, first 2 shown]
	v_pk_add_f32 v[38:39], v[38:39], v[44:45]
	v_pk_fma_f32 v[72:73], v[46:47], 0.5, v[40:41] op_sel_hi:[1,0,1] neg_lo:[1,0,0] neg_hi:[1,0,0]
	v_pk_fma_f32 v[44:45], v[62:63], 0.5, v[16:17] op_sel_hi:[1,0,1] neg_lo:[1,0,0] neg_hi:[1,0,0]
	v_pk_fma_f32 v[46:47], v[26:27], s[18:19], v[36:37] op_sel:[1,0,0] op_sel_hi:[0,0,1] neg_lo:[1,0,0] neg_hi:[1,0,0]
	v_pk_fma_f32 v[36:37], v[26:27], s[18:19], v[36:37] op_sel:[1,0,0] op_sel_hi:[0,0,1]
	v_pk_add_f32 v[76:77], v[58:59], v[60:61]
	v_pk_fma_f32 v[58:59], v[34:35], s[18:19], v[44:45] op_sel:[1,0,0] op_sel_hi:[0,0,1] neg_lo:[1,0,0] neg_hi:[1,0,0]
	v_pk_fma_f32 v[60:61], v[34:35], s[18:19], v[44:45] op_sel:[1,0,0] op_sel_hi:[0,0,1]
	v_pk_fma_f32 v[36:37], v[34:35], s[8:9], v[36:37] op_sel:[1,0,0] op_sel_hi:[0,0,1] neg_lo:[1,0,0] neg_hi:[1,0,0]
	v_pk_fma_f32 v[34:35], v[34:35], s[8:9], v[46:47] op_sel:[1,0,0] op_sel_hi:[0,0,1]
	v_pk_add_f32 v[64:65], v[42:43], v[22:23] neg_lo:[0,1] neg_hi:[0,1]
	v_pk_add_f32 v[68:69], v[32:33], v[30:31] neg_lo:[0,1] neg_hi:[0,1]
	v_pk_fma_f32 v[44:45], v[26:27], s[8:9], v[58:59] op_sel:[1,0,0] op_sel_hi:[0,0,1] neg_lo:[1,0,0] neg_hi:[1,0,0]
	v_pk_fma_f32 v[46:47], v[26:27], s[8:9], v[60:61] op_sel:[1,0,0] op_sel_hi:[0,0,1]
	v_mov_b32_e32 v62, v34
	v_mov_b32_e32 v63, v37
	v_pk_add_f32 v[50:51], v[20:21], v[28:29] neg_lo:[0,1] neg_hi:[0,1]
	v_pk_add_f32 v[70:71], v[20:21], v[28:29]
	v_pk_add_f32 v[64:65], v[64:65], v[68:69]
	v_mov_b32_e32 v45, v47
	v_pk_fma_f32 v[46:47], v[38:39], s[10:11], v[62:63] op_sel_hi:[1,0,1]
	v_pk_add_f32 v[62:63], v[18:19], v[20:21] neg_lo:[0,1] neg_hi:[0,1]
	v_pk_add_f32 v[68:69], v[24:25], v[28:29] neg_lo:[0,1] neg_hi:[0,1]
	;; [unrolled: 1-line block ×3, first 2 shown]
	v_pk_fma_f32 v[80:81], v[70:71], 0.5, v[40:41] op_sel_hi:[1,0,1] neg_lo:[1,0,0] neg_hi:[1,0,0]
	v_pk_add_f32 v[68:69], v[62:63], v[68:69]
	v_pk_fma_f32 v[62:63], v[50:51], s[18:19], v[72:73] op_sel:[1,0,0] op_sel_hi:[0,0,1] neg_lo:[1,0,0] neg_hi:[1,0,0]
	v_pk_fma_f32 v[70:71], v[50:51], s[18:19], v[72:73] op_sel:[1,0,0] op_sel_hi:[0,0,1]
	v_pk_fma_f32 v[70:71], v[66:67], s[8:9], v[70:71] op_sel:[1,0,0] op_sel_hi:[0,0,1] neg_lo:[1,0,0] neg_hi:[1,0,0]
	v_pk_fma_f32 v[72:73], v[66:67], s[8:9], v[62:63] op_sel:[1,0,0] op_sel_hi:[0,0,1]
	v_mov_b32_e32 v62, v72
	v_mov_b32_e32 v63, v71
	v_pk_fma_f32 v[74:75], v[76:77], s[10:11], v[62:63] op_sel_hi:[1,0,1]
	v_mov_b32_e32 v71, v73
	v_pk_mul_f32 v[88:89], v[74:75], s[18:19] op_sel_hi:[1,0]
	v_mov_b32_e32 v37, v35
	v_pk_fma_f32 v[62:63], v[74:75], s[10:11], v[88:89] op_sel:[0,0,1] op_sel_hi:[1,0,0]
	v_pk_fma_f32 v[74:75], v[74:75], s[10:11], v[88:89] op_sel:[0,0,1] op_sel_hi:[1,0,0] neg_lo:[0,0,1] neg_hi:[0,0,1]
	v_pk_fma_f32 v[34:35], v[76:77], s[10:11], v[70:71] op_sel_hi:[1,0,1]
	v_mov_b32_e32 v63, v75
	v_pk_fma_f32 v[74:75], v[38:39], s[10:11], v[36:37] op_sel_hi:[1,0,1]
	v_pk_mul_f32 v[36:37], v[34:35], s[10:11] op_sel_hi:[1,0]
	v_pk_fma_f32 v[70:71], v[66:67], s[18:19], v[80:81] op_sel:[1,0,0] op_sel_hi:[0,0,1] neg_lo:[1,0,0] neg_hi:[1,0,0]
	v_pk_fma_f32 v[72:73], v[66:67], s[18:19], v[80:81] op_sel:[1,0,0] op_sel_hi:[0,0,1]
	v_pk_fma_f32 v[76:77], v[34:35], s[20:21], v[36:37] op_sel:[0,0,1] op_sel_hi:[1,1,0] neg_lo:[0,0,1] neg_hi:[0,0,1]
	v_pk_fma_f32 v[34:35], v[50:51], s[8:9], v[70:71] op_sel:[1,0,0] op_sel_hi:[0,0,1] neg_lo:[1,0,0] neg_hi:[1,0,0]
	v_pk_fma_f32 v[36:37], v[50:51], s[8:9], v[72:73] op_sel:[1,0,0] op_sel_hi:[0,0,1]
	v_mov_b32_e32 v35, v37
	v_pk_fma_f32 v[34:35], v[68:69], s[10:11], v[34:35] op_sel_hi:[1,0,1]
	s_mov_b32 s18, 0xbf167918
	s_mov_b32 s19, s8
	v_pk_mul_f32 v[36:37], v[34:35], s[18:19]
	s_mov_b32 s18, 0xbf4f1bbd
	v_pk_fma_f32 v[44:45], v[64:65], s[10:11], v[44:45] op_sel_hi:[1,0,1]
	v_pk_fma_f32 v[66:67], v[34:35], s[18:19], v[36:37] op_sel:[0,0,1] op_sel_hi:[1,0,0]
	v_pk_add_f32 v[34:35], v[46:47], v[62:63] neg_lo:[0,1] neg_hi:[0,1]
	v_pk_add_f32 v[36:37], v[74:75], v[76:77] op_sel:[0,1] op_sel_hi:[1,0] neg_lo:[0,1] neg_hi:[0,1]
	v_pk_add_f32 v[38:39], v[44:45], v[66:67] neg_lo:[0,1] neg_hi:[0,1]
	s_and_saveexec_b64 s[18:19], s[4:5]
	s_cbranch_execz .LBB0_11
; %bb.10:
	v_pk_add_f32 v[18:19], v[40:41], v[18:19]
	v_pk_mul_f32 v[50:51], v[50:51], s[8:9] op_sel:[1,0] op_sel_hi:[0,0]
	v_pk_add_f32 v[18:19], v[18:19], v[20:21]
	v_pk_add_f32 v[16:17], v[16:17], v[42:43]
	;; [unrolled: 1-line block ×6, first 2 shown]
	v_pk_add_f32 v[24:25], v[70:71], v[50:51] neg_lo:[0,1] neg_hi:[0,1]
	v_pk_mul_f32 v[26:27], v[26:27], s[8:9] op_sel:[1,0] op_sel_hi:[0,0]
	v_pk_mul_f32 v[68:69], v[68:69], s[10:11] op_sel_hi:[1,0]
	v_mov_b32_e32 v23, v25
	v_pk_add_f32 v[22:23], v[68:69], v[22:23]
	v_pk_add_f32 v[24:25], v[60:61], v[26:27]
	v_pk_add_f32 v[26:27], v[58:59], v[26:27] neg_lo:[0,1] neg_hi:[0,1]
	v_pk_mul_f32 v[64:65], v[64:65], s[10:11] op_sel_hi:[1,0]
	v_mov_b32_e32 v25, v27
	s_mov_b32 s10, 0x3f4f1bbd
	v_pk_mul_f32 v[26:27], v[22:23], s[8:9] op_sel_hi:[1,0]
	v_mul_u32_u24_e32 v55, 0x6e, v86
	v_pk_add_f32 v[16:17], v[16:17], v[30:31]
	v_pk_fma_f32 v[28:29], v[22:23], s[10:11], v[26:27] op_sel:[0,0,1] op_sel_hi:[1,0,0]
	v_pk_fma_f32 v[22:23], v[22:23], s[10:11], v[26:27] op_sel:[0,0,1] op_sel_hi:[1,0,0] neg_lo:[0,0,1] neg_hi:[0,0,1]
	v_add_u32_e32 v55, v55, v87
	v_pk_add_f32 v[16:17], v[16:17], v[32:33]
	v_pk_add_f32 v[24:25], v[64:65], v[24:25]
	v_mov_b32_e32 v29, v23
	v_mov_b32_e32 v80, v77
	;; [unrolled: 1-line block ×3, first 2 shown]
	v_add_lshl_u32 v55, v78, v55, 3
	v_pk_add_f32 v[20:21], v[16:17], v[18:19]
	v_pk_add_f32 v[22:23], v[24:25], v[28:29]
	;; [unrolled: 1-line block ×3, first 2 shown]
	ds_write2_b64 v55, v[20:21], v[22:23] offset1:11
	v_pk_add_f32 v[20:21], v[46:47], v[62:63]
	ds_write2_b64 v55, v[20:21], v[74:75] offset0:22 offset1:33
	v_pk_add_f32 v[20:21], v[44:45], v[66:67]
	v_pk_add_f32 v[16:17], v[16:17], v[18:19] neg_lo:[0,1] neg_hi:[0,1]
	ds_write2_b64 v55, v[20:21], v[16:17] offset0:44 offset1:55
	v_pk_add_f32 v[16:17], v[24:25], v[28:29] neg_lo:[0,1] neg_hi:[0,1]
	ds_write2_b64 v55, v[16:17], v[34:35] offset0:66 offset1:77
	ds_write2_b64 v55, v[36:37], v[38:39] offset0:88 offset1:99
.LBB0_11:
	s_or_b64 exec, exec, s[18:19]
	s_load_dwordx4 s[8:11], s[0:1], 0x0
	v_mad_u64_u32 v[28:29], s[0:1], v53, 48, s[14:15]
	s_waitcnt lgkmcnt(0)
	s_barrier
	global_load_dwordx4 v[24:27], v[28:29], off offset:808
	global_load_dwordx4 v[20:23], v[28:29], off offset:792
	;; [unrolled: 1-line block ×3, first 2 shown]
	v_add_u32_e32 v40, 0x400, v83
	v_add_u32_e32 v44, 0xc00, v83
	ds_read2_b64 v[28:31], v83 offset1:110
	ds_read_b64 v[32:33], v83 offset:5280
	ds_read2_b64 v[40:43], v40 offset0:92 offset1:202
	ds_read2_b64 v[44:47], v44 offset0:56 offset1:166
	s_mov_b32 s18, 0x3d64c772
	s_mov_b32 s22, 0x3f4a47b2
	;; [unrolled: 1-line block ×8, first 2 shown]
	v_lshl_add_u32 v84, v53, 3, v82
	s_waitcnt vmcnt(2) lgkmcnt(1)
	v_mul_f32_e32 v50, v43, v25
	s_waitcnt lgkmcnt(0)
	v_mul_f32_e32 v55, v45, v27
	s_waitcnt vmcnt(1)
	v_mul_f32_e32 v58, v31, v21
	v_mul_f32_e32 v60, v30, v21
	;; [unrolled: 1-line block ×4, first 2 shown]
	s_waitcnt vmcnt(0)
	v_mul_f32_e32 v65, v47, v17
	v_mul_f32_e32 v68, v46, v17
	;; [unrolled: 1-line block ×8, first 2 shown]
	v_fma_f32 v64, v42, v24, -v50
	v_fma_f32 v66, v44, v26, -v55
	;; [unrolled: 1-line block ×3, first 2 shown]
	v_fmac_f32_e32 v60, v31, v20
	v_fma_f32 v42, v40, v22, -v61
	v_fmac_f32_e32 v63, v41, v22
	v_fma_f32 v50, v46, v16, -v65
	;; [unrolled: 2-line block ×3, first 2 shown]
	v_fmac_f32_e32 v62, v33, v18
	v_add_f32_e32 v67, v60, v62
	v_add_f32_e32 v65, v63, v68
	v_pk_add_f32 v[32:33], v[44:45], v[58:59]
	v_pk_add_f32 v[40:41], v[42:43], v[50:51]
	v_sub_f32_e32 v31, v42, v50
	v_sub_f32_e32 v30, v63, v68
	v_mov_b32_e32 v61, v44
	v_mov_b32_e32 v63, v58
	v_mov_b32_e32 v43, v66
	v_mov_b32_e32 v45, v64
	v_pk_add_f32 v[46:47], v[40:41], v[32:33]
	v_pk_add_f32 v[50:51], v[64:65], v[66:67]
	v_mov_b32_e32 v42, v33
	v_mov_b32_e32 v44, v41
	v_pk_add_f32 v[58:59], v[60:61], v[62:63] neg_lo:[0,1] neg_hi:[0,1]
	v_mov_b32_e32 v64, v40
	v_mov_b32_e32 v66, v32
	v_pk_add_f32 v[60:61], v[46:47], v[50:51]
	v_mov_b32_e32 v51, v47
	v_pk_add_f32 v[42:43], v[42:43], v[44:45] neg_lo:[0,1] neg_hi:[0,1]
	v_mov_b32_e32 v32, v30
	v_mov_b32_e32 v41, v31
	v_pk_add_f32 v[62:63], v[30:31], v[58:59] neg_lo:[0,1] neg_hi:[0,1]
	v_pk_add_f32 v[44:45], v[50:51], v[64:65] neg_lo:[0,1] neg_hi:[0,1]
	;; [unrolled: 1-line block ×3, first 2 shown]
	v_mov_b32_e32 v33, v43
	v_mov_b32_e32 v40, v42
	v_pk_add_f32 v[30:31], v[42:43], v[30:31] neg_lo:[0,1] neg_hi:[0,1]
	v_pk_add_f32 v[68:69], v[64:65], v[66:67] neg_lo:[0,1] neg_hi:[0,1]
	v_pk_add_f32 v[28:29], v[28:29], v[60:61]
	v_pk_add_f32 v[42:43], v[58:59], v[42:43] neg_lo:[0,1] neg_hi:[0,1]
	v_pk_mul_f32 v[64:65], v[44:45], s[18:19] op_sel_hi:[1,0]
	v_pk_mul_f32 v[50:51], v[50:51], s[22:23] op_sel_hi:[1,0]
	v_pk_add_f32 v[32:33], v[32:33], v[40:41]
	v_pk_mul_f32 v[30:31], v[30:31], s[28:29] op_sel_hi:[1,0]
	v_pk_mul_f32 v[46:47], v[62:63], s[0:1] op_sel_hi:[1,0]
	v_pk_fma_f32 v[60:61], v[60:61], s[14:15], v[28:29] op_sel_hi:[1,0,1]
	v_pk_fma_f32 v[40:41], v[44:45], s[18:19], v[50:51] op_sel_hi:[1,0,1]
	v_pk_fma_f32 v[44:45], v[68:69], s[20:21], v[64:65] op_sel_hi:[1,0,1] neg_lo:[0,0,1] neg_hi:[0,0,1]
	v_pk_fma_f32 v[50:51], v[68:69], s[20:21], v[50:51] op_sel_hi:[1,0,1] neg_lo:[1,0,1] neg_hi:[1,0,1]
	v_pk_add_f32 v[32:33], v[32:33], v[58:59]
	v_pk_fma_f32 v[58:59], v[42:43], s[26:27], v[30:31] op_sel_hi:[1,0,1]
	v_pk_fma_f32 v[30:31], v[62:63], s[0:1], v[30:31] op_sel_hi:[1,0,1] neg_lo:[0,0,1] neg_hi:[0,0,1]
	v_pk_fma_f32 v[42:43], v[42:43], s[26:27], v[46:47] op_sel_hi:[1,0,1] neg_lo:[1,0,1] neg_hi:[1,0,1]
	v_pk_add_f32 v[62:63], v[40:41], v[60:61]
	v_pk_add_f32 v[40:41], v[44:45], v[60:61]
	;; [unrolled: 1-line block ×3, first 2 shown]
	v_pk_fma_f32 v[60:61], v[32:33], s[24:25], v[58:59] op_sel_hi:[1,0,1]
	v_pk_fma_f32 v[46:47], v[32:33], s[24:25], v[30:31] op_sel_hi:[1,0,1]
	;; [unrolled: 1-line block ×3, first 2 shown]
	v_pk_add_f32 v[30:31], v[62:63], v[60:61]
	v_pk_add_f32 v[42:43], v[62:63], v[60:61] neg_lo:[0,1] neg_hi:[0,1]
	v_pk_add_f32 v[44:45], v[50:51], v[32:33]
	v_mov_b32_e32 v31, v43
	v_pk_add_f32 v[42:43], v[50:51], v[32:33] neg_lo:[0,1] neg_hi:[0,1]
	v_mov_b32_e32 v58, v32
	v_mov_b32_e32 v45, v43
	v_pk_add_f32 v[42:43], v[40:41], v[46:47] neg_lo:[0,1] neg_hi:[0,1]
	v_pk_add_f32 v[40:41], v[40:41], v[46:47]
	v_mov_b32_e32 v46, v42
	v_mov_b32_e32 v47, v41
	;; [unrolled: 1-line block ×8, first 2 shown]
	v_pk_add_f32 v[58:59], v[42:43], v[58:59] neg_lo:[0,1] neg_hi:[0,1]
	v_pk_add_f32 v[50:51], v[60:61], v[62:63]
	v_add_u32_e32 v32, 0x400, v84
	ds_write2_b64 v32, v[44:45], v[46:47] offset0:92 offset1:202
	v_mov_b32_e32 v42, v58
	v_mov_b32_e32 v43, v50
	v_add_u32_e32 v32, 0xc00, v84
	ds_write2_b64 v32, v[40:41], v[42:43] offset0:56 offset1:166
	v_mov_b32_e32 v32, v59
	v_mov_b32_e32 v33, v51
	ds_write2_b64 v84, v[28:29], v[30:31] offset1:110
	ds_write_b64 v84, v[32:33] offset:5280
	s_waitcnt lgkmcnt(0)
	s_barrier
	s_and_saveexec_b64 s[0:1], s[6:7]
	s_cbranch_execz .LBB0_13
; %bb.12:
	v_mov_b32_e32 v55, 0
	v_lshl_add_u64 v[32:33], s[12:13], 0, v[54:55]
	s_mov_b64 s[14:15], 0x1810
	v_lshl_add_u64 v[60:61], v[32:33], 0, s[14:15]
	s_movk_i32 s14, 0x2000
	v_add_co_u32_e32 v62, vcc, s14, v32
	global_load_dwordx2 v[80:81], v[60:61], off offset:560
	global_load_dwordx2 v[88:89], v[60:61], off offset:1120
	;; [unrolled: 1-line block ×3, first 2 shown]
	v_addc_co_u32_e32 v63, vcc, 0, v33, vcc
	v_add_co_u32_e32 v32, vcc, 0x1000, v32
	global_load_dwordx2 v[92:93], v[60:61], off offset:2240
	global_load_dwordx2 v[94:95], v[60:61], off offset:2800
	;; [unrolled: 1-line block ×4, first 2 shown]
	v_addc_co_u32_e32 v33, vcc, 0, v33, vcc
	global_load_dwordx2 v[100:101], v[62:63], off offset:2448
	global_load_dwordx2 v[102:103], v[62:63], off offset:3008
	;; [unrolled: 1-line block ×3, first 2 shown]
	v_add_u32_e32 v55, 0x800, v84
	global_load_dwordx2 v[32:33], v[32:33], off offset:2064
	ds_read2_b64 v[60:63], v84 offset1:70
	ds_read2_b64 v[64:67], v84 offset0:140 offset1:210
	v_add_u32_e32 v110, 0x1000, v84
	ds_read_b64 v[106:107], v84 offset:5600
	ds_read2_b64 v[68:71], v55 offset0:24 offset1:94
	ds_read2_b64 v[72:75], v55 offset0:164 offset1:234
	;; [unrolled: 1-line block ×3, first 2 shown]
	s_waitcnt vmcnt(10) lgkmcnt(5)
	v_mul_f32_e32 v108, v63, v81
	v_mul_f32_e32 v109, v62, v81
	s_waitcnt vmcnt(9) lgkmcnt(4)
	v_mul_f32_e32 v111, v65, v89
	v_mul_f32_e32 v81, v64, v89
	s_waitcnt vmcnt(8)
	v_mul_f32_e32 v112, v67, v91
	v_mul_f32_e32 v89, v66, v91
	s_waitcnt vmcnt(7) lgkmcnt(2)
	v_mul_f32_e32 v113, v69, v93
	v_mul_f32_e32 v91, v68, v93
	s_waitcnt vmcnt(6)
	;; [unrolled: 6-line block ×4, first 2 shown]
	v_mul_f32_e32 v118, v79, v103
	v_mul_f32_e32 v101, v78, v103
	s_waitcnt vmcnt(1)
	v_mul_f32_e32 v119, v107, v105
	v_mul_f32_e32 v103, v106, v105
	v_fma_f32 v108, v62, v80, -v108
	v_fmac_f32_e32 v109, v63, v80
	v_fma_f32 v80, v64, v88, -v111
	v_fmac_f32_e32 v81, v65, v88
	;; [unrolled: 2-line block ×7, first 2 shown]
	s_waitcnt vmcnt(0)
	v_mul_f32_e32 v62, v61, v33
	v_mul_f32_e32 v63, v60, v33
	v_fma_f32 v98, v76, v100, -v117
	v_fmac_f32_e32 v99, v77, v100
	v_fma_f32 v100, v78, v102, -v118
	v_fmac_f32_e32 v101, v79, v102
	;; [unrolled: 2-line block ×3, first 2 shown]
	ds_write2_b64 v84, v[80:81], v[88:89] offset0:140 offset1:210
	ds_write2_b64 v55, v[90:91], v[92:93] offset0:24 offset1:94
	;; [unrolled: 1-line block ×3, first 2 shown]
	v_fma_f32 v62, v60, v32, -v62
	v_fmac_f32_e32 v63, v61, v32
	ds_write2_b64 v110, v[98:99], v[100:101] offset0:48 offset1:118
	ds_write2_b64 v84, v[62:63], v[108:109] offset1:70
	ds_write_b64 v84, v[102:103] offset:5600
.LBB0_13:
	s_or_b64 exec, exec, s[0:1]
	s_waitcnt lgkmcnt(0)
	s_barrier
	s_and_saveexec_b64 s[0:1], s[2:3]
	s_xor_b64 s[0:1], exec, s[0:1]
	s_andn2_saveexec_b64 s[0:1], s[0:1]
	s_cbranch_execz .LBB0_15
; %bb.14:
	v_add_u32_e32 v32, 0x800, v84
	ds_read2_b64 v[28:31], v84 offset1:70
	ds_read2_b64 v[44:47], v84 offset0:140 offset1:210
	ds_read2_b64 v[40:43], v32 offset0:24 offset1:94
	;; [unrolled: 1-line block ×3, first 2 shown]
	v_add_u32_e32 v36, 0x1000, v84
	ds_read2_b64 v[36:39], v36 offset0:48 offset1:118
	ds_read_b64 v[48:49], v84 offset:5600
	s_waitcnt lgkmcnt(3)
	v_mov_b32_e32 v50, v43
	s_waitcnt lgkmcnt(2)
	v_mov_b32_e32 v51, v33
	v_mov_b32_e32 v58, v42
	;; [unrolled: 1-line block ×3, first 2 shown]
.LBB0_15:
	s_or_b64 exec, exec, s[0:1]
	v_pk_add_f32 v[32:33], v[30:31], v[28:29]
	v_pk_add_f32 v[78:79], v[58:59], v[58:59] op_sel:[0,1]
	v_pk_add_f32 v[32:33], v[44:45], v[32:33]
	v_pk_add_f32 v[76:77], v[50:51], v[50:51] op_sel:[0,1] neg_lo:[0,1] neg_hi:[0,1]
	v_pk_add_f32 v[32:33], v[46:47], v[32:33]
	s_mov_b32 s22, 0xbf0a6770
	v_pk_add_f32 v[32:33], v[40:41], v[32:33]
	s_mov_b32 s2, 0x3f575c64
	v_pk_add_f32 v[32:33], v[42:43], v[32:33]
	v_mov_b32_e32 v42, v59
	v_mov_b32_e32 v43, v51
	v_pk_add_f32 v[32:33], v[42:43], v[32:33]
	v_pk_add_f32 v[42:43], v[58:59], v[58:59] op_sel_hi:[0,1] neg_lo:[0,1] neg_hi:[0,1]
	v_pk_add_f32 v[32:33], v[34:35], v[32:33]
	v_mov_b32_e32 v79, v43
	s_waitcnt lgkmcnt(1)
	v_pk_add_f32 v[32:33], v[36:37], v[32:33]
	v_pk_add_f32 v[42:43], v[50:51], v[50:51] op_sel_hi:[0,1]
	v_pk_add_f32 v[32:33], v[38:39], v[32:33]
	v_mov_b32_e32 v77, v43
	s_waitcnt lgkmcnt(0)
	v_pk_add_f32 v[42:43], v[30:31], v[48:49] neg_lo:[0,1] neg_hi:[0,1]
	v_pk_add_f32 v[32:33], v[48:49], v[32:33]
	v_pk_add_f32 v[50:51], v[48:49], v[30:31]
	v_pk_mul_f32 v[48:49], v[42:43], s[22:23] op_sel_hi:[1,0]
	v_pk_add_f32 v[80:81], v[38:39], v[44:45]
	v_pk_add_f32 v[38:39], v[44:45], v[38:39] neg_lo:[0,1] neg_hi:[0,1]
	s_mov_b32 s34, 0xbf68dda4
	v_pk_fma_f32 v[30:31], v[50:51], s[2:3], v[48:49] op_sel:[0,0,1] op_sel_hi:[1,0,0]
	v_pk_fma_f32 v[58:59], v[50:51], s[2:3], v[48:49] op_sel:[0,0,1] op_sel_hi:[1,0,0] neg_lo:[0,0,1] neg_hi:[0,0,1]
	s_mov_b32 s14, 0x3ed4b147
	v_pk_mul_f32 v[44:45], v[38:39], s[34:35] op_sel_hi:[1,0]
	v_pk_add_f32 v[88:89], v[36:37], v[46:47]
	v_pk_add_f32 v[36:37], v[46:47], v[36:37] neg_lo:[0,1] neg_hi:[0,1]
	s_mov_b32 s18, 0xbf7d64f0
	v_mov_b32_e32 v48, v30
	v_mov_b32_e32 v49, v59
	v_pk_fma_f32 v[60:61], v[80:81], s[14:15], v[44:45] op_sel:[0,0,1] op_sel_hi:[1,0,0]
	v_pk_fma_f32 v[62:63], v[80:81], s[14:15], v[44:45] op_sel:[0,0,1] op_sel_hi:[1,0,0] neg_lo:[0,0,1] neg_hi:[0,0,1]
	s_mov_b32 s28, 0xbe11bafb
	v_pk_mul_f32 v[46:47], v[36:37], s[18:19] op_sel_hi:[1,0]
	v_pk_add_f32 v[90:91], v[34:35], v[40:41]
	v_pk_add_f32 v[40:41], v[40:41], v[34:35] neg_lo:[0,1] neg_hi:[0,1]
	s_mov_b32 s20, 0xbf4178ce
	s_mov_b32 s0, 0xbe903f40
	v_pk_add_f32 v[48:49], v[28:29], v[48:49]
	v_mov_b32_e32 v44, v60
	v_mov_b32_e32 v45, v63
	v_pk_fma_f32 v[64:65], v[88:89], s[28:29], v[46:47] op_sel:[0,0,1] op_sel_hi:[1,0,0]
	v_pk_fma_f32 v[66:67], v[88:89], s[28:29], v[46:47] op_sel:[0,0,1] op_sel_hi:[1,0,0] neg_lo:[0,0,1] neg_hi:[0,0,1]
	s_mov_b32 s24, 0xbf27a4f4
	v_pk_mul_f32 v[34:35], v[40:41], s[20:21] op_sel_hi:[1,0]
	s_mov_b32 s1, 0xbf75a155
	v_pk_add_f32 v[44:45], v[44:45], v[48:49]
	v_mov_b32_e32 v46, v64
	v_mov_b32_e32 v47, v67
	v_pk_fma_f32 v[68:69], v[90:91], s[24:25], v[34:35] op_sel:[0,0,1] op_sel_hi:[1,0,0]
	v_pk_fma_f32 v[70:71], v[90:91], s[24:25], v[34:35] op_sel:[0,0,1] op_sel_hi:[1,0,0] neg_lo:[0,0,1] neg_hi:[0,0,1]
	s_mov_b32 s26, s1
	s_mov_b32 s27, s0
	v_pk_add_f32 v[44:45], v[46:47], v[44:45]
	v_mov_b32_e32 v34, v68
	v_mov_b32_e32 v35, v71
	v_pk_mul_f32 v[74:75], v[78:79], s[26:27]
	v_pk_add_f32 v[34:35], v[34:35], v[44:45]
	v_pk_fma_f32 v[72:73], v[76:77], s[0:1], v[74:75]
	v_pk_fma_f32 v[44:45], v[76:77], s[0:1], v[74:75] neg_lo:[0,0,1] neg_hi:[0,0,1]
	s_mov_b32 s15, s34
	v_mov_b32_e32 v44, v72
	v_pk_add_f32 v[34:35], v[44:45], v[34:35]
	v_mov_b32_e32 v45, v51
	v_mov_b32_e32 v51, v42
	;; [unrolled: 1-line block ×3, first 2 shown]
	s_mov_b32 s35, s14
	v_pk_mul_f32 v[42:43], v[50:51], s[14:15]
	v_mov_b32_e32 v93, v81
	v_mov_b32_e32 v81, v38
	s_mov_b32 s25, s20
	v_pk_fma_f32 v[46:47], v[44:45], s[34:35], v[42:43] neg_lo:[1,0,0] neg_hi:[1,0,0]
	v_pk_fma_f32 v[48:49], v[44:45], s[34:35], v[42:43]
	v_mov_b32_e32 v92, v39
	s_mov_b32 s21, s24
	v_pk_mul_f32 v[38:39], v[80:81], s[24:25]
	v_mov_b32_e32 v47, v49
	v_pk_fma_f32 v[94:95], v[92:93], s[20:21], v[38:39] neg_lo:[1,0,0] neg_hi:[1,0,0]
	v_pk_fma_f32 v[96:97], v[92:93], s[20:21], v[38:39]
	v_pk_add_f32 v[46:47], v[28:29], v[46:47]
	v_mov_b32_e32 v95, v97
	s_mov_b32 s40, 0x3e903f40
	v_pk_add_f32 v[46:47], v[94:95], v[46:47]
	v_mov_b32_e32 v95, v89
	v_mov_b32_e32 v89, v36
	s_mov_b32 s38, s1
	s_mov_b32 s39, s40
	v_mov_b32_e32 v94, v37
	s_mov_b32 s41, s1
	v_pk_mul_f32 v[36:37], v[88:89], s[38:39]
	s_mov_b32 s36, 0x3f7d64f0
	v_pk_fma_f32 v[98:99], v[94:95], s[40:41], v[36:37] neg_lo:[1,0,0] neg_hi:[1,0,0]
	v_pk_fma_f32 v[100:101], v[94:95], s[40:41], v[36:37]
	s_mov_b32 s29, s36
	v_mov_b32_e32 v99, v101
	v_pk_add_f32 v[46:47], v[98:99], v[46:47]
	v_mov_b32_e32 v99, v91
	v_mov_b32_e32 v91, v40
	v_pk_fma_f32 v[42:43], v[44:45], s[34:35], v[42:43] neg_lo:[0,0,1] neg_hi:[0,0,1]
	v_mov_b32_e32 v98, v41
	s_mov_b32 s37, s28
	v_pk_mul_f32 v[40:41], v[90:91], s[28:29]
	v_mov_b32_e32 v49, v43
	v_pk_fma_f32 v[38:39], v[92:93], s[20:21], v[38:39] neg_lo:[0,0,1] neg_hi:[0,0,1]
	v_pk_fma_f32 v[102:103], v[98:99], s[36:37], v[40:41] neg_lo:[1,0,0] neg_hi:[1,0,0]
	v_pk_fma_f32 v[104:105], v[98:99], s[36:37], v[40:41]
	v_pk_add_f32 v[42:43], v[28:29], v[48:49]
	v_mov_b32_e32 v97, v39
	v_pk_fma_f32 v[36:37], v[94:95], s[40:41], v[36:37] neg_lo:[0,0,1] neg_hi:[0,0,1]
	v_mov_b32_e32 v103, v105
	s_mov_b32 s31, s2
	v_pk_add_f32 v[38:39], v[96:97], v[42:43]
	v_mov_b32_e32 v101, v37
	v_pk_add_f32 v[46:47], v[102:103], v[46:47]
	v_pk_mul_f32 v[102:103], v[76:77], s[30:31]
	s_mov_b32 s3, s30
	v_pk_add_f32 v[36:37], v[100:101], v[38:39]
	v_pk_fma_f32 v[38:39], v[98:99], s[36:37], v[40:41] neg_lo:[0,0,1] neg_hi:[0,0,1]
	v_pk_fma_f32 v[40:41], v[78:79], s[2:3], v[102:103] neg_lo:[1,0,0] neg_hi:[1,0,0]
	v_mov_b32_e32 v105, v39
	v_pk_fma_f32 v[38:39], v[78:79], s[2:3], v[102:103]
	v_pk_add_f32 v[36:37], v[104:105], v[36:37]
	v_mov_b32_e32 v40, v38
	v_pk_add_f32 v[36:37], v[40:41], v[36:37]
	v_pk_fma_f32 v[40:41], v[78:79], s[2:3], v[102:103] neg_lo:[0,0,1] neg_hi:[0,0,1]
	s_mov_b32 s34, s28
	s_mov_b32 s35, s18
	v_mov_b32_e32 v41, v39
	s_mov_b32 s19, s28
	v_pk_mul_f32 v[38:39], v[50:51], s[34:35]
	v_pk_add_f32 v[42:43], v[40:41], v[46:47]
	v_pk_fma_f32 v[40:41], v[44:45], s[18:19], v[38:39] neg_lo:[1,0,0] neg_hi:[1,0,0]
	v_pk_fma_f32 v[46:47], v[44:45], s[18:19], v[38:39]
	v_pk_mul_f32 v[48:49], v[80:81], s[38:39]
	v_mov_b32_e32 v41, v47
	v_pk_fma_f32 v[96:97], v[92:93], s[40:41], v[48:49] neg_lo:[1,0,0] neg_hi:[1,0,0]
	v_pk_fma_f32 v[100:101], v[92:93], s[40:41], v[48:49]
	s_mov_b32 s38, 0x3f68dda4
	v_pk_add_f32 v[40:41], v[28:29], v[40:41]
	v_mov_b32_e32 v97, v101
	s_mov_b32 s15, s38
	v_pk_add_f32 v[40:41], v[96:97], v[40:41]
	s_mov_b32 s39, s14
	v_pk_mul_f32 v[96:97], v[88:89], s[14:15]
	s_mov_b32 s42, s2
	v_pk_fma_f32 v[102:103], v[94:95], s[38:39], v[96:97] neg_lo:[1,0,0] neg_hi:[1,0,0]
	v_pk_fma_f32 v[104:105], v[94:95], s[38:39], v[96:97]
	s_mov_b32 s43, s22
	v_mov_b32_e32 v103, v105
	v_pk_fma_f32 v[38:39], v[44:45], s[18:19], v[38:39] neg_lo:[0,0,1] neg_hi:[0,0,1]
	v_pk_add_f32 v[40:41], v[102:103], v[40:41]
	s_mov_b32 s23, s2
	v_pk_mul_f32 v[102:103], v[90:91], s[42:43]
	v_mov_b32_e32 v47, v39
	v_pk_fma_f32 v[106:107], v[98:99], s[22:23], v[102:103] neg_lo:[1,0,0] neg_hi:[1,0,0]
	v_pk_fma_f32 v[108:109], v[98:99], s[22:23], v[102:103]
	v_pk_add_f32 v[38:39], v[28:29], v[46:47]
	v_pk_fma_f32 v[46:47], v[92:93], s[40:41], v[48:49] neg_lo:[0,0,1] neg_hi:[0,0,1]
	v_mov_b32_e32 v107, v109
	v_mov_b32_e32 v101, v47
	v_pk_fma_f32 v[46:47], v[94:95], s[38:39], v[96:97] neg_lo:[0,0,1] neg_hi:[0,0,1]
	v_pk_add_f32 v[40:41], v[106:107], v[40:41]
	v_pk_mul_f32 v[106:107], v[76:77], s[20:21]
	v_pk_add_f32 v[38:39], v[100:101], v[38:39]
	v_mov_b32_e32 v105, v47
	v_pk_fma_f32 v[46:47], v[98:99], s[22:23], v[102:103] neg_lo:[0,0,1] neg_hi:[0,0,1]
	v_pk_add_f32 v[38:39], v[104:105], v[38:39]
	v_mov_b32_e32 v109, v47
	v_pk_fma_f32 v[46:47], v[78:79], s[24:25], v[106:107]
	v_pk_fma_f32 v[48:49], v[78:79], s[24:25], v[106:107] neg_lo:[1,0,0] neg_hi:[1,0,0]
	v_pk_add_f32 v[38:39], v[108:109], v[38:39]
	v_mov_b32_e32 v48, v46
	v_pk_add_f32 v[38:39], v[48:49], v[38:39]
	v_pk_fma_f32 v[48:49], v[78:79], s[24:25], v[106:107] neg_lo:[0,0,1] neg_hi:[0,0,1]
	v_pk_mul_f32 v[100:101], v[80:81], s[28:29]
	v_mov_b32_e32 v49, v47
	v_pk_mul_f32 v[46:47], v[50:51], s[24:25]
	v_pk_add_f32 v[40:41], v[48:49], v[40:41]
	v_pk_fma_f32 v[48:49], v[44:45], s[20:21], v[46:47] neg_lo:[1,0,0] neg_hi:[1,0,0]
	v_pk_fma_f32 v[96:97], v[44:45], s[20:21], v[46:47]
	v_pk_fma_f32 v[102:103], v[92:93], s[36:37], v[100:101] neg_lo:[1,0,0] neg_hi:[1,0,0]
	v_mov_b32_e32 v49, v97
	v_pk_fma_f32 v[104:105], v[92:93], s[36:37], v[100:101]
	v_pk_add_f32 v[48:49], v[28:29], v[48:49]
	v_mov_b32_e32 v103, v105
	v_pk_add_f32 v[48:49], v[102:103], v[48:49]
	v_pk_mul_f32 v[102:103], v[88:89], s[42:43]
	v_pk_fma_f32 v[46:47], v[44:45], s[20:21], v[46:47] neg_lo:[0,0,1] neg_hi:[0,0,1]
	v_pk_fma_f32 v[106:107], v[94:95], s[22:23], v[102:103] neg_lo:[1,0,0] neg_hi:[1,0,0]
	v_pk_fma_f32 v[108:109], v[94:95], s[22:23], v[102:103]
	v_mov_b32_e32 v97, v47
	v_mov_b32_e32 v107, v109
	v_pk_add_f32 v[48:49], v[106:107], v[48:49]
	v_pk_mul_f32 v[106:107], v[90:91], s[26:27]
	v_pk_add_f32 v[46:47], v[28:29], v[96:97]
	v_pk_fma_f32 v[110:111], v[98:99], s[0:1], v[106:107] neg_lo:[1,0,0] neg_hi:[1,0,0]
	v_pk_fma_f32 v[112:113], v[98:99], s[0:1], v[106:107]
	v_pk_mul_f32 v[114:115], v[76:77], s[38:39]
	v_mov_b32_e32 v111, v113
	v_pk_add_f32 v[110:111], v[110:111], v[48:49]
	v_pk_fma_f32 v[48:49], v[92:93], s[36:37], v[100:101] neg_lo:[0,0,1] neg_hi:[0,0,1]
	v_pk_fma_f32 v[96:97], v[78:79], s[14:15], v[114:115]
	v_mov_b32_e32 v105, v49
	v_pk_fma_f32 v[48:49], v[94:95], s[22:23], v[102:103] neg_lo:[0,0,1] neg_hi:[0,0,1]
	v_pk_add_f32 v[46:47], v[104:105], v[46:47]
	v_mov_b32_e32 v109, v49
	v_pk_fma_f32 v[48:49], v[98:99], s[0:1], v[106:107] neg_lo:[0,0,1] neg_hi:[0,0,1]
	v_pk_add_f32 v[46:47], v[108:109], v[46:47]
	;; [unrolled: 3-line block ×3, first 2 shown]
	v_mov_b32_e32 v48, v96
	v_pk_add_f32 v[48:49], v[48:49], v[46:47]
	v_pk_fma_f32 v[46:47], v[78:79], s[14:15], v[114:115] neg_lo:[0,0,1] neg_hi:[0,0,1]
	v_pk_mul_f32 v[50:51], v[50:51], s[26:27]
	v_mov_b32_e32 v47, v97
	v_pk_fma_f32 v[96:97], v[44:45], s[0:1], v[50:51] neg_lo:[1,0,0] neg_hi:[1,0,0]
	v_pk_fma_f32 v[100:101], v[44:45], s[0:1], v[50:51]
	v_pk_mul_f32 v[80:81], v[80:81], s[2:3]
	v_mov_b32_e32 v97, v101
	v_pk_fma_f32 v[102:103], v[92:93], s[30:31], v[80:81] neg_lo:[1,0,0] neg_hi:[1,0,0]
	v_pk_fma_f32 v[104:105], v[92:93], s[30:31], v[80:81]
	v_pk_add_f32 v[96:97], v[28:29], v[96:97]
	v_mov_b32_e32 v103, v105
	v_pk_mul_f32 v[88:89], v[88:89], s[24:25]
	v_pk_add_f32 v[96:97], v[102:103], v[96:97]
	v_pk_fma_f32 v[102:103], v[94:95], s[20:21], v[88:89] neg_lo:[1,0,0] neg_hi:[1,0,0]
	v_pk_fma_f32 v[106:107], v[94:95], s[20:21], v[88:89]
	v_pk_mul_f32 v[90:91], v[90:91], s[14:15]
	v_mov_b32_e32 v103, v107
	v_pk_fma_f32 v[44:45], v[44:45], s[0:1], v[50:51] neg_lo:[0,0,1] neg_hi:[0,0,1]
	v_pk_add_f32 v[96:97], v[102:103], v[96:97]
	v_pk_fma_f32 v[102:103], v[98:99], s[38:39], v[90:91] neg_lo:[1,0,0] neg_hi:[1,0,0]
	v_pk_fma_f32 v[108:109], v[98:99], s[38:39], v[90:91]
	v_mov_b32_e32 v101, v45
	v_pk_fma_f32 v[50:51], v[92:93], s[30:31], v[80:81] neg_lo:[0,0,1] neg_hi:[0,0,1]
	v_mov_b32_e32 v103, v109
	v_pk_add_f32 v[44:45], v[28:29], v[100:101]
	v_mov_b32_e32 v105, v51
	v_pk_fma_f32 v[50:51], v[94:95], s[20:21], v[88:89] neg_lo:[0,0,1] neg_hi:[0,0,1]
	v_pk_add_f32 v[96:97], v[102:103], v[96:97]
	v_pk_mul_f32 v[102:103], v[76:77], s[18:19]
	v_pk_add_f32 v[44:45], v[104:105], v[44:45]
	v_mov_b32_e32 v107, v51
	v_pk_fma_f32 v[50:51], v[98:99], s[38:39], v[90:91] neg_lo:[0,0,1] neg_hi:[0,0,1]
	v_pk_add_f32 v[44:45], v[106:107], v[44:45]
	v_mov_b32_e32 v109, v51
	v_pk_fma_f32 v[80:81], v[78:79], s[34:35], v[102:103]
	v_pk_fma_f32 v[50:51], v[78:79], s[34:35], v[102:103] neg_lo:[1,0,0] neg_hi:[1,0,0]
	v_pk_add_f32 v[44:45], v[108:109], v[44:45]
	v_mov_b32_e32 v50, v80
	v_pk_add_f32 v[50:51], v[50:51], v[44:45]
	v_pk_fma_f32 v[44:45], v[78:79], s[34:35], v[102:103] neg_lo:[0,0,1] neg_hi:[0,0,1]
	v_pk_add_f32 v[46:47], v[46:47], v[110:111]
	v_mov_b32_e32 v45, v81
	v_pk_add_f32 v[44:45], v[44:45], v[96:97]
	s_barrier
	s_and_saveexec_b64 s[2:3], s[6:7]
	s_cbranch_execz .LBB0_17
; %bb.16:
	v_mov_b32_e32 v59, v31
	v_pk_add_f32 v[28:29], v[28:29], v[58:59]
	v_mov_b32_e32 v63, v61
	v_pk_mul_f32 v[76:77], v[76:77], s[0:1]
	v_pk_add_f32 v[28:29], v[62:63], v[28:29]
	v_mov_b32_e32 v67, v65
	v_pk_add_f32 v[28:29], v[66:67], v[28:29]
	v_mov_b32_e32 v71, v69
	v_pk_add_f32 v[30:31], v[74:75], v[76:77] neg_lo:[0,1] neg_hi:[0,1]
	v_pk_add_f32 v[28:29], v[70:71], v[28:29]
	v_mov_b32_e32 v31, v73
	v_lshl_add_u32 v55, v85, 3, v82
	v_pk_add_f32 v[28:29], v[30:31], v[28:29]
	ds_write2_b64 v55, v[32:33], v[34:35] offset1:1
	ds_write2_b64 v55, v[36:37], v[38:39] offset0:2 offset1:3
	ds_write2_b64 v55, v[48:49], v[50:51] offset0:4 offset1:5
	;; [unrolled: 1-line block ×4, first 2 shown]
	ds_write_b64 v55, v[28:29] offset:80
.LBB0_17:
	s_or_b64 exec, exec, s[2:3]
	s_waitcnt lgkmcnt(0)
	s_barrier
	s_and_saveexec_b64 s[0:1], s[4:5]
	s_cbranch_execz .LBB0_19
; %bb.18:
	v_add_u32_e32 v28, 0x800, v83
	ds_read2_b64 v[32:35], v83 offset1:77
	ds_read2_b64 v[36:39], v83 offset0:154 offset1:231
	ds_read2_b64 v[48:51], v28 offset0:52 offset1:129
	v_add_u32_e32 v28, 0xc00, v83
	ds_read2_b64 v[44:47], v28 offset0:78 offset1:155
	v_add_u32_e32 v28, 0x1000, v83
	ds_read2_b64 v[40:43], v28 offset0:104 offset1:181
.LBB0_19:
	s_or_b64 exec, exec, s[0:1]
	s_waitcnt lgkmcnt(0)
	s_barrier
	s_and_saveexec_b64 s[0:1], s[4:5]
	s_cbranch_execz .LBB0_21
; %bb.20:
	v_pk_mul_f32 v[28:29], v[2:3], v[36:37] op_sel:[0,1]
	v_pk_mul_f32 v[30:31], v[14:15], v[48:49] op_sel:[0,1]
	v_pk_fma_f32 v[72:73], v[2:3], v[36:37], v[28:29] op_sel:[0,0,1] op_sel_hi:[1,1,0]
	v_pk_fma_f32 v[2:3], v[2:3], v[36:37], v[28:29] op_sel:[0,0,1] op_sel_hi:[1,0,0] neg_lo:[1,0,0] neg_hi:[1,0,0]
	v_pk_mul_f32 v[58:59], v[6:7], v[40:41] op_sel:[0,1]
	v_mov_b32_e32 v73, v3
	v_pk_fma_f32 v[2:3], v[14:15], v[48:49], v[30:31] op_sel:[0,0,1] op_sel_hi:[1,1,0]
	v_pk_fma_f32 v[14:15], v[14:15], v[48:49], v[30:31] op_sel:[0,0,1] op_sel_hi:[1,0,0] neg_lo:[1,0,0] neg_hi:[1,0,0]
	v_pk_mul_f32 v[60:61], v[10:11], v[44:45] op_sel:[0,1]
	v_mov_b32_e32 v3, v15
	v_pk_fma_f32 v[14:15], v[6:7], v[40:41], v[58:59] op_sel:[0,0,1] op_sel_hi:[1,1,0]
	v_pk_fma_f32 v[6:7], v[6:7], v[40:41], v[58:59] op_sel:[0,0,1] op_sel_hi:[1,0,0] neg_lo:[1,0,0] neg_hi:[1,0,0]
	v_pk_mul_f32 v[62:63], v[12:13], v[38:39] op_sel:[0,1]
	v_pk_mul_f32 v[64:65], v[8:9], v[50:51] op_sel:[0,1]
	;; [unrolled: 1-line block ×4, first 2 shown]
	v_mov_b32_e32 v15, v7
	v_pk_fma_f32 v[6:7], v[10:11], v[44:45], v[60:61] op_sel:[0,0,1] op_sel_hi:[1,1,0]
	v_pk_fma_f32 v[10:11], v[10:11], v[44:45], v[60:61] op_sel:[0,0,1] op_sel_hi:[1,0,0] neg_lo:[1,0,0] neg_hi:[1,0,0]
	v_pk_fma_f32 v[28:29], v[8:9], v[50:51], v[64:65] op_sel:[0,0,1] op_sel_hi:[1,1,0]
	v_mov_b32_e32 v7, v11
	v_pk_fma_f32 v[10:11], v[12:13], v[38:39], v[62:63] op_sel:[0,0,1] op_sel_hi:[1,1,0]
	v_pk_fma_f32 v[12:13], v[12:13], v[38:39], v[62:63] op_sel:[0,0,1] op_sel_hi:[1,0,0] neg_lo:[1,0,0] neg_hi:[1,0,0]
	v_pk_fma_f32 v[30:31], v[56:57], v[42:43], v[66:67] op_sel:[0,0,1] op_sel_hi:[1,1,0]
	v_pk_fma_f32 v[38:39], v[4:5], v[46:47], v[68:69] op_sel:[0,0,1] op_sel_hi:[1,1,0]
	v_pk_fma_f32 v[36:37], v[56:57], v[42:43], v[66:67] op_sel:[0,0,1] op_sel_hi:[1,0,0] neg_lo:[1,0,0] neg_hi:[1,0,0]
	v_mov_b32_e32 v40, v30
	v_mov_b32_e32 v41, v10
	;; [unrolled: 1-line block ×4, first 2 shown]
	v_pk_fma_f32 v[8:9], v[8:9], v[50:51], v[64:65] op_sel:[0,0,1] op_sel_hi:[1,0,0] neg_lo:[1,0,0] neg_hi:[1,0,0]
	v_pk_fma_f32 v[4:5], v[4:5], v[46:47], v[68:69] op_sel:[0,0,1] op_sel_hi:[1,0,0] neg_lo:[1,0,0] neg_hi:[1,0,0]
	v_pk_add_f32 v[44:45], v[40:41], v[42:43] neg_lo:[0,1] neg_hi:[0,1]
	v_mov_b32_e32 v12, v37
	v_mov_b32_e32 v4, v45
	;; [unrolled: 1-line block ×3, first 2 shown]
	v_pk_mul_f32 v[70:71], v[0:1], v[34:35] op_sel:[0,1]
	v_mov_b32_e32 v29, v9
	v_mov_b32_e32 v39, v5
	v_pk_add_f32 v[44:45], v[44:45], v[4:5]
	v_pk_add_f32 v[4:5], v[12:13], v[8:9] neg_lo:[0,1] neg_hi:[0,1]
	v_pk_add_f32 v[40:41], v[42:43], v[40:41] neg_lo:[0,1] neg_hi:[0,1]
	;; [unrolled: 1-line block ×3, first 2 shown]
	v_mov_b32_e32 v11, v13
	v_mov_b32_e32 v31, v37
	v_pk_fma_f32 v[48:49], v[0:1], v[34:35], v[70:71] op_sel:[0,0,1] op_sel_hi:[1,0,0]
	v_pk_fma_f32 v[0:1], v[0:1], v[34:35], v[70:71] op_sel:[0,0,1] op_sel_hi:[1,0,0] neg_lo:[1,0,0] neg_hi:[1,0,0]
	v_mov_b32_e32 v42, v41
	v_mov_b32_e32 v12, v9
	v_pk_add_f32 v[46:47], v[38:39], v[28:29]
	v_mov_b32_e32 v49, v1
	v_pk_add_f32 v[34:35], v[10:11], v[30:31] neg_lo:[0,1] neg_hi:[0,1]
	s_mov_b32 s2, 0x3e9e377a
	v_mov_b32_e32 v36, v5
	v_pk_add_f32 v[40:41], v[40:41], v[42:43]
	v_pk_add_f32 v[42:43], v[30:31], v[10:11]
	;; [unrolled: 1-line block ×3, first 2 shown]
	v_pk_add_f32 v[50:51], v[28:29], v[38:39] neg_lo:[0,1] neg_hi:[0,1]
	s_mov_b32 s3, 0x3f167918
	v_pk_add_f32 v[4:5], v[4:5], v[36:37]
	v_fma_f32 v37, -0.5, v47, v1
	v_fmac_f32_e32 v1, -0.5, v43
	v_mov_b32_e32 v9, v34
	v_pk_add_f32 v[10:11], v[10:11], v[48:49]
	v_fma_f32 v46, -0.5, v46, v48
	v_mov_b32_e32 v45, v51
	v_mov_b32_e32 v47, v48
	v_fmamk_f32 v12, v50, 0x3f737871, v1
	v_pk_mul_f32 v[8:9], v[8:9], s[2:3]
	v_fmac_f32_e32 v1, 0xbf737871, v50
	v_pk_add_f32 v[10:11], v[28:29], v[10:11]
	v_fmamk_f32 v0, v35, 0x3f737871, v46
	v_pk_mul_f32 v[44:45], v[44:45], s[2:3]
	v_mov_b32_e32 v5, v50
	v_mov_b32_e32 v41, v35
	v_fmac_f32_e32 v47, -0.5, v42
	v_sub_f32_e32 v12, v12, v9
	v_add_f32_e32 v1, v9, v1
	v_fmac_f32_e32 v46, 0xbf737871, v35
	v_pk_add_f32 v[10:11], v[38:39], v[10:11]
	s_mov_b32 s4, 0x3f737871
	v_add_f32_e32 v0, v45, v0
	v_fmamk_f32 v36, v34, 0xbf737871, v37
	v_pk_mul_f32 v[4:5], v[4:5], s[2:3]
	v_pk_mul_f32 v[40:41], v[40:41], s[2:3]
	v_fmamk_f32 v42, v51, 0xbf737871, v47
	v_add_f32_e32 v12, v8, v12
	v_fmac_f32_e32 v47, 0x3f737871, v51
	v_add_f32_e32 v8, v8, v1
	v_sub_f32_e32 v1, v46, v45
	v_fmac_f32_e32 v37, 0x3f737871, v34
	v_pk_add_f32 v[10:11], v[30:31], v[10:11]
	v_pk_add_f32 v[30:31], v[6:7], v[2:3]
	v_pk_add_f32 v[38:39], v[72:73], v[14:15] neg_lo:[0,1] neg_hi:[0,1]
	v_add_f32_e32 v0, v44, v0
	v_sub_f32_e32 v36, v36, v5
	v_sub_f32_e32 v13, v47, v41
	v_add_f32_e32 v44, v44, v1
	v_add_f32_e32 v1, v5, v37
	v_pk_fma_f32 v[30:31], v[30:31], 0.5, v[32:33] op_sel_hi:[1,0,1] neg_lo:[1,0,0] neg_hi:[1,0,0]
	v_pk_mul_f32 v[46:47], v[38:39], s[4:5] op_sel_hi:[1,0]
	v_pk_add_f32 v[48:49], v[2:3], v[6:7] neg_lo:[0,1] neg_hi:[0,1]
	s_mov_b32 s14, s3
	v_pk_add_f32 v[56:57], v[72:73], v[2:3] neg_lo:[0,1] neg_hi:[0,1]
	v_pk_add_f32 v[58:59], v[14:15], v[6:7] neg_lo:[0,1] neg_hi:[0,1]
	s_mov_b32 s18, 0x3f4f1bbd
	v_add_f32_e32 v36, v4, v36
	v_add_f32_e32 v4, v4, v1
	v_pk_add_f32 v[34:35], v[72:73], v[32:33]
	v_pk_mul_f32 v[50:51], v[48:49], s[14:15] op_sel_hi:[1,0]
	v_pk_add_f32 v[56:57], v[58:59], v[56:57]
	v_pk_add_f32 v[58:59], v[30:31], v[46:47] op_sel:[0,1] op_sel_hi:[1,0] neg_lo:[0,1] neg_hi:[0,1]
	v_pk_add_f32 v[30:31], v[30:31], v[46:47] op_sel:[0,1] op_sel_hi:[1,0]
	s_mov_b32 s20, s3
	s_mov_b32 s21, s18
	v_pk_add_f32 v[34:35], v[2:3], v[34:35]
	v_pk_add_f32 v[30:31], v[30:31], v[50:51] op_sel:[0,1] op_sel_hi:[1,0]
	v_pk_add_f32 v[46:47], v[58:59], v[50:51] op_sel:[0,1] op_sel_hi:[1,0] neg_lo:[0,1] neg_hi:[0,1]
	s_mov_b32 s19, s3
	v_pk_mul_f32 v[4:5], v[4:5], s[20:21] op_sel_hi:[0,1]
	v_mul_u32_u24_e32 v55, 0x6e, v86
	v_pk_add_f32 v[34:35], v[6:7], v[34:35]
	v_mov_b32_e32 v50, v46
	v_mov_b32_e32 v51, v31
	v_pk_fma_f32 v[58:59], v[44:45], s[18:19], v[4:5] neg_lo:[0,0,1] neg_hi:[0,0,1]
	v_pk_fma_f32 v[4:5], v[44:45], s[18:19], v[4:5] op_sel_hi:[0,1,1]
	v_add_u32_e32 v55, v55, v87
	v_pk_add_f32 v[34:35], v[14:15], v[34:35]
	v_pk_fma_f32 v[50:51], v[56:57], s[2:3], v[50:51] op_sel_hi:[1,0,1]
	v_mov_b32_e32 v59, v5
	v_lshl_add_u32 v55, v55, 3, v82
	v_add_f32_e32 v42, v41, v42
	v_pk_add_f32 v[28:29], v[34:35], v[10:11]
	v_pk_add_f32 v[4:5], v[50:51], v[58:59]
	s_mov_b32 s5, s2
	v_add_f32_e32 v42, v40, v42
	v_add_f32_e32 v40, v40, v13
	ds_write2_b64 v55, v[28:29], v[4:5] offset1:11
	v_pk_add_f32 v[2:3], v[2:3], v[72:73] neg_lo:[0,1] neg_hi:[0,1]
	v_pk_add_f32 v[4:5], v[6:7], v[14:15] neg_lo:[0,1] neg_hi:[0,1]
	s_mov_b32 s18, s2
	s_mov_b32 s19, s4
	v_pk_mul_f32 v[6:7], v[8:9], s[4:5] op_sel_hi:[0,1]
	v_pk_add_f32 v[2:3], v[4:5], v[2:3]
	v_pk_add_f32 v[4:5], v[14:15], v[72:73]
	v_pk_fma_f32 v[8:9], v[40:41], s[18:19], v[6:7] neg_lo:[0,0,1] neg_hi:[0,0,1]
	v_pk_fma_f32 v[6:7], v[40:41], s[18:19], v[6:7] op_sel_hi:[0,1,1]
	v_pk_fma_f32 v[4:5], v[4:5], 0.5, v[32:33] op_sel_hi:[1,0,1] neg_lo:[1,0,0] neg_hi:[1,0,0]
	v_mov_b32_e32 v9, v7
	v_pk_mul_f32 v[6:7], v[48:49], s[4:5] op_sel_hi:[1,0]
	v_pk_mul_f32 v[14:15], v[38:39], s[14:15] op_sel_hi:[1,0]
	v_pk_add_f32 v[28:29], v[4:5], v[6:7] op_sel:[0,1] op_sel_hi:[1,0]
	v_pk_add_f32 v[4:5], v[4:5], v[6:7] op_sel:[0,1] op_sel_hi:[1,0] neg_lo:[0,1] neg_hi:[0,1]
	v_pk_add_f32 v[6:7], v[28:29], v[14:15] op_sel:[0,1] op_sel_hi:[1,0] neg_lo:[0,1] neg_hi:[0,1]
	v_pk_add_f32 v[4:5], v[4:5], v[14:15] op_sel:[0,1] op_sel_hi:[1,0]
	v_mov_b32_e32 v14, v6
	v_mov_b32_e32 v15, v5
	s_mov_b32 s14, 0xbe9e377a
	s_mov_b32 s15, s4
	v_pk_mul_f32 v[12:13], v[12:13], s[4:5] op_sel_hi:[0,1]
	v_mov_b32_e32 v5, v7
	v_pk_fma_f32 v[14:15], v[2:3], s[2:3], v[14:15] op_sel_hi:[1,0,1]
	v_pk_fma_f32 v[12:13], v[42:43], s[14:15], v[12:13] op_sel_hi:[0,1,1] neg_lo:[0,0,1] neg_hi:[0,0,1]
	v_pk_fma_f32 v[2:3], v[2:3], s[2:3], v[4:5] op_sel_hi:[1,0,1]
	v_pk_add_f32 v[28:29], v[14:15], v[8:9]
	v_pk_add_f32 v[4:5], v[2:3], v[12:13]
	ds_write2_b64 v55, v[28:29], v[4:5] offset0:22 offset1:33
	s_mov_b32 s4, 0xbf4f1bbd
	s_mov_b32 s5, s3
	v_pk_mul_f32 v[4:5], v[36:37], s[20:21] op_sel_hi:[0,1]
	v_mov_b32_e32 v31, v47
	v_pk_fma_f32 v[0:1], v[0:1], s[4:5], v[4:5] op_sel_hi:[0,1,1] neg_lo:[0,0,1] neg_hi:[0,0,1]
	v_pk_fma_f32 v[4:5], v[56:57], s[2:3], v[30:31] op_sel_hi:[1,0,1]
	v_pk_add_f32 v[10:11], v[34:35], v[10:11] neg_lo:[0,1] neg_hi:[0,1]
	v_pk_add_f32 v[6:7], v[4:5], v[0:1]
	ds_write2_b64 v55, v[6:7], v[10:11] offset0:44 offset1:55
	v_pk_add_f32 v[6:7], v[50:51], v[58:59] neg_lo:[0,1] neg_hi:[0,1]
	v_pk_add_f32 v[8:9], v[14:15], v[8:9] neg_lo:[0,1] neg_hi:[0,1]
	;; [unrolled: 1-line block ×4, first 2 shown]
	ds_write2_b64 v55, v[6:7], v[8:9] offset0:66 offset1:77
	ds_write2_b64 v55, v[2:3], v[0:1] offset0:88 offset1:99
.LBB0_21:
	s_or_b64 exec, exec, s[0:1]
	v_add_u32_e32 v0, 0x400, v83
	s_waitcnt lgkmcnt(0)
	s_barrier
	ds_read2_b64 v[0:3], v0 offset0:92 offset1:202
	ds_read2_b64 v[4:7], v83 offset1:110
	v_add_u32_e32 v8, 0xc00, v83
	ds_read2_b64 v[8:11], v8 offset0:56 offset1:166
	ds_read_b64 v[12:13], v83 offset:5280
	v_mov_b32_e32 v28, v25
	s_waitcnt lgkmcnt(3)
	v_pk_mul_f32 v[30:31], v[24:25], v[2:3] op_sel:[0,1] op_sel_hi:[1,0]
	v_pk_mul_f32 v[14:15], v[24:25], v[2:3]
	v_mov_b32_e32 v30, v31
	s_waitcnt lgkmcnt(1)
	v_pk_mul_f32 v[32:33], v[26:27], v[8:9] op_sel:[0,1] op_sel_hi:[1,0]
	v_pk_mul_f32 v[28:29], v[28:29], v[2:3] op_sel:[0,1] op_sel_hi:[1,0]
	v_pk_fma_f32 v[2:3], v[24:25], v[2:3], v[30:31] op_sel:[0,1,0] op_sel_hi:[1,0,1] neg_lo:[0,0,1] neg_hi:[0,0,1]
	v_mov_b32_e32 v30, v27
	v_mov_b32_e32 v32, v33
	v_pk_mul_f32 v[24:25], v[26:27], v[8:9]
	v_pk_mul_f32 v[30:31], v[30:31], v[8:9] op_sel:[0,1] op_sel_hi:[1,0]
	v_pk_fma_f32 v[8:9], v[26:27], v[8:9], v[32:33] op_sel:[0,1,0] op_sel_hi:[1,0,1] neg_lo:[0,0,1] neg_hi:[0,0,1]
	v_pk_mul_f32 v[32:33], v[20:21], v[6:7] op_sel_hi:[1,0]
	v_mov_b32_e32 v26, v7
	v_pk_fma_f32 v[6:7], v[20:21], v[6:7], v[32:33] op_sel:[0,1,1] op_sel_hi:[1,1,0]
	v_pk_fma_f32 v[26:27], v[20:21], v[26:27], v[32:33] op_sel:[0,0,1] op_sel_hi:[1,1,0] neg_lo:[0,0,1] neg_hi:[0,0,1]
	v_mov_b32_e32 v6, v1
	v_pk_mul_f32 v[20:21], v[22:23], v[0:1] op_sel_hi:[1,0]
	v_mov_b32_e32 v27, v7
	v_pk_fma_f32 v[6:7], v[22:23], v[6:7], v[20:21] op_sel:[0,0,1] op_sel_hi:[1,1,0] neg_lo:[0,0,1] neg_hi:[0,0,1]
	v_pk_fma_f32 v[0:1], v[22:23], v[0:1], v[20:21] op_sel:[0,1,1] op_sel_hi:[1,1,0]
	v_pk_mul_f32 v[20:21], v[16:17], v[10:11] op_sel_hi:[1,0]
	v_mov_b32_e32 v0, v11
	v_pk_fma_f32 v[10:11], v[16:17], v[10:11], v[20:21] op_sel:[0,1,1] op_sel_hi:[1,1,0]
	v_mov_b32_e32 v7, v1
	v_pk_fma_f32 v[0:1], v[16:17], v[0:1], v[20:21] op_sel:[0,0,1] op_sel_hi:[1,1,0] neg_lo:[0,0,1] neg_hi:[0,0,1]
	s_waitcnt lgkmcnt(0)
	v_mov_b32_e32 v10, v13
	v_pk_mul_f32 v[16:17], v[18:19], v[12:13] op_sel_hi:[1,0]
	v_mov_b32_e32 v1, v11
	v_pk_fma_f32 v[10:11], v[18:19], v[10:11], v[16:17] op_sel:[0,0,1] op_sel_hi:[1,1,0] neg_lo:[0,0,1] neg_hi:[0,0,1]
	v_pk_fma_f32 v[12:13], v[18:19], v[12:13], v[16:17] op_sel:[0,1,1] op_sel_hi:[1,1,0]
	v_mov_b32_e32 v25, v26
	v_mov_b32_e32 v11, v13
	;; [unrolled: 1-line block ×5, first 2 shown]
	v_pk_add_f32 v[12:13], v[26:27], v[10:11]
	v_pk_add_f32 v[16:17], v[26:27], v[10:11] neg_lo:[0,1] neg_hi:[0,1]
	v_pk_add_f32 v[18:19], v[6:7], v[0:1]
	v_pk_add_f32 v[20:21], v[6:7], v[0:1] neg_lo:[0,1] neg_hi:[0,1]
	v_pk_add_f32 v[10:11], v[24:25], v[30:31]
	v_pk_add_f32 v[0:1], v[14:15], v[28:29]
	v_mov_b32_e32 v9, v10
	v_mov_b32_e32 v3, v0
	v_pk_add_f32 v[6:7], v[8:9], v[2:3] neg_lo:[0,1] neg_hi:[0,1]
	v_mov_b32_e32 v26, v19
	v_mov_b32_e32 v27, v2
	;; [unrolled: 1-line block ×4, first 2 shown]
	v_pk_add_f32 v[2:3], v[26:27], v[2:3]
	v_pk_add_f32 v[8:9], v[0:1], v[10:11]
	v_mov_b32_e32 v14, v6
	v_mov_b32_e32 v15, v17
	;; [unrolled: 1-line block ×4, first 2 shown]
	s_mov_b32 s0, 0x3f08b237
	v_mov_b32_e32 v10, v8
	v_mov_b32_e32 v27, v3
	s_mov_b32 s14, 0x3d64c772
	v_pk_add_f32 v[14:15], v[14:15], v[22:23] neg_lo:[0,1] neg_hi:[0,1]
	s_mov_b32 s1, 0xbeae86e6
	v_mov_b32_e32 v22, v16
	v_mov_b32_e32 v24, v6
	;; [unrolled: 1-line block ×3, first 2 shown]
	v_pk_add_f32 v[26:27], v[10:11], v[26:27] neg_lo:[0,1] neg_hi:[0,1]
	v_mov_b32_e32 v28, v13
	v_mov_b32_e32 v29, v3
	;; [unrolled: 1-line block ×3, first 2 shown]
	v_pk_add_f32 v[2:3], v[2:3], v[8:9]
	s_mov_b32 s15, 0x3f4a47b2
	v_pk_mul_f32 v[14:15], v[14:15], s[0:1]
	v_pk_add_f32 v[22:23], v[22:23], v[24:25] neg_lo:[0,1] neg_hi:[0,1]
	s_mov_b32 s2, s1
	s_mov_b32 s3, s0
	v_pk_add_f32 v[6:7], v[6:7], v[20:21]
	v_pk_add_f32 v[28:29], v[28:29], v[0:1] neg_lo:[0,1] neg_hi:[0,1]
	v_pk_add_f32 v[4:5], v[4:5], v[2:3]
	s_mov_b32 s4, 0xbf955555
	v_pk_mul_f32 v[8:9], v[26:27], s[14:15]
	s_mov_b32 s18, s15
	s_mov_b32 s19, s14
	v_pk_mul_f32 v[24:25], v[22:23], s[2:3]
	v_pk_add_f32 v[6:7], v[6:7], v[16:17]
	s_mov_b32 s0, 0xbee1c552
	v_pk_mul_f32 v[26:27], v[28:29], s[18:19]
	v_pk_fma_f32 v[2:3], v[2:3], s[4:5], v[4:5] op_sel_hi:[1,0,1]
	v_pk_fma_f32 v[28:29], v[28:29], s[18:19], v[8:9]
	v_pk_fma_f32 v[22:23], v[22:23], s[2:3], v[14:15]
	v_pk_add_f32 v[28:29], v[28:29], v[2:3]
	v_pk_fma_f32 v[22:23], v[6:7], s[0:1], v[22:23] op_sel_hi:[1,0,1]
	v_mov_b32_e32 v0, v19
	v_pk_add_f32 v[30:31], v[28:29], v[22:23]
	v_pk_add_f32 v[22:23], v[28:29], v[22:23] neg_lo:[0,1] neg_hi:[0,1]
	v_mov_b32_e32 v28, v30
	v_mov_b32_e32 v29, v23
	;; [unrolled: 1-line block ×3, first 2 shown]
	ds_write2_b64 v84, v[4:5], v[28:29] offset1:110
	v_pk_add_f32 v[4:5], v[20:21], v[16:17] neg_lo:[0,1] neg_hi:[0,1]
	s_mov_b32 s2, 0xbf5ff5aa
	v_pk_add_f32 v[0:1], v[0:1], v[10:11] neg_lo:[0,1] neg_hi:[0,1]
	s_mov_b32 s4, 0x3f3bfb3b
	v_mov_b32_e32 v10, v26
	v_mov_b32_e32 v11, v9
	;; [unrolled: 1-line block ×6, first 2 shown]
	v_pk_fma_f32 v[10:11], v[0:1], s[4:5], v[10:11] op_sel_hi:[1,0,1] neg_lo:[1,0,1] neg_hi:[1,0,1]
	v_pk_fma_f32 v[12:13], v[4:5], s[2:3], v[12:13] op_sel_hi:[1,0,1] neg_lo:[1,0,1] neg_hi:[1,0,1]
	;; [unrolled: 1-line block ×4, first 2 shown]
	v_pk_add_f32 v[10:11], v[10:11], v[2:3]
	v_pk_fma_f32 v[12:13], v[6:7], s[0:1], v[12:13] op_sel_hi:[1,0,1]
	v_pk_add_f32 v[0:1], v[0:1], v[2:3]
	v_pk_fma_f32 v[2:3], v[6:7], s[0:1], v[4:5] op_sel_hi:[1,0,1]
	v_pk_add_f32 v[16:17], v[10:11], v[12:13]
	v_pk_add_f32 v[10:11], v[10:11], v[12:13] neg_lo:[0,1] neg_hi:[0,1]
	v_pk_add_f32 v[4:5], v[0:1], v[2:3] neg_lo:[0,1] neg_hi:[0,1]
	v_pk_add_f32 v[0:1], v[0:1], v[2:3]
	v_mov_b32_e32 v12, v16
	v_mov_b32_e32 v13, v11
	v_mov_b32_e32 v6, v4
	v_mov_b32_e32 v7, v1
	v_add_u32_e32 v3, 0x400, v84
	v_mov_b32_e32 v1, v5
	v_mov_b32_e32 v11, v17
	v_add_u32_e32 v2, 0xc00, v84
	v_mov_b32_e32 v23, v31
	ds_write2_b64 v3, v[12:13], v[6:7] offset0:92 offset1:202
	ds_write2_b64 v2, v[0:1], v[10:11] offset0:56 offset1:166
	ds_write_b64 v84, v[22:23] offset:5280
	s_waitcnt lgkmcnt(0)
	s_barrier
	s_and_b64 exec, exec, s[6:7]
	s_cbranch_execz .LBB0_23
; %bb.22:
	global_load_dwordx2 v[0:1], v54, s[12:13]
	global_load_dwordx2 v[12:13], v54, s[12:13] offset:560
	global_load_dwordx2 v[14:15], v54, s[12:13] offset:1120
	;; [unrolled: 1-line block ×4, first 2 shown]
	ds_read_b64 v[22:23], v84
	ds_read2_b64 v[4:7], v84 offset0:70 offset1:140
	ds_read2_b64 v[8:11], v3 offset0:82 offset1:152
	global_load_dwordx2 v[28:29], v54, s[12:13] offset:2800
	global_load_dwordx2 v[30:31], v54, s[12:13] offset:3360
	;; [unrolled: 1-line block ×3, first 2 shown]
	v_mov_b32_e32 v55, 0
	v_mad_u64_u32 v[24:25], s[2:3], s8, v53, 0
	v_mad_u64_u32 v[20:21], s[0:1], s10, v52, 0
	s_movk_i32 s3, 0x1000
	v_lshl_add_u64 v[36:37], s[12:13], 0, v[54:55]
	v_mov_b32_e32 v34, v21
	v_mov_b32_e32 v38, v25
	v_add_co_u32_e32 v36, vcc, s3, v36
	v_mad_u64_u32 v[34:35], s[4:5], s11, v52, v[34:35]
	v_mad_u64_u32 v[38:39], s[4:5], s9, v53, v[38:39]
	v_addc_co_u32_e32 v37, vcc, 0, v37, vcc
	v_mov_b32_e32 v21, v34
	v_mov_b32_e32 v25, v38
	global_load_dwordx2 v[34:35], v[36:37], off offset:384
	global_load_dwordx2 v[38:39], v[36:37], off offset:944
	;; [unrolled: 1-line block ×3, first 2 shown]
	v_mov_b32_e32 v18, s16
	v_mov_b32_e32 v19, s17
	v_lshl_add_u64 v[18:19], v[20:21], 3, v[18:19]
	s_mov_b32 s0, 0xe6bb82fe
	v_mov_b32_e32 v42, 0x230
	v_lshl_add_u64 v[18:19], v[24:25], 3, v[18:19]
	s_mov_b32 s1, 0x3f554725
	s_mul_i32 s2, s9, 0x230
	v_mad_u64_u32 v[20:21], s[4:5], s8, v42, v[18:19]
	v_add_u32_e32 v21, s2, v21
	v_mad_u64_u32 v[24:25], s[4:5], s8, v42, v[20:21]
	v_add_u32_e32 v25, s2, v25
	s_waitcnt vmcnt(10) lgkmcnt(2)
	v_mul_f32_e32 v3, v23, v1
	v_mul_f32_e32 v1, v22, v1
	s_waitcnt vmcnt(9) lgkmcnt(1)
	v_mul_f32_e32 v36, v5, v13
	v_mul_f32_e32 v13, v4, v13
	s_waitcnt vmcnt(8)
	v_mul_f32_e32 v37, v7, v15
	v_mul_f32_e32 v15, v6, v15
	v_fmac_f32_e32 v3, v22, v0
	v_fma_f32 v22, v0, v23, -v1
	v_fmac_f32_e32 v36, v4, v12
	v_fma_f32 v12, v12, v5, -v13
	;; [unrolled: 2-line block ×3, first 2 shown]
	v_cvt_f64_f32_e32 v[0:1], v3
	v_cvt_f64_f32_e32 v[4:5], v22
	v_cvt_f64_f32_e32 v[6:7], v36
	v_cvt_f64_f32_e32 v[12:13], v12
	v_cvt_f64_f32_e32 v[14:15], v37
	v_cvt_f64_f32_e32 v[22:23], v23
	v_mul_f64 v[0:1], v[0:1], s[0:1]
	v_mul_f64 v[4:5], v[4:5], s[0:1]
	s_waitcnt vmcnt(7) lgkmcnt(0)
	v_mul_f32_e32 v43, v9, v17
	v_mul_f32_e32 v17, v8, v17
	v_mul_f64 v[6:7], v[6:7], s[0:1]
	v_mul_f64 v[12:13], v[12:13], s[0:1]
	;; [unrolled: 1-line block ×4, first 2 shown]
	v_cvt_f32_f64_e32 v0, v[0:1]
	v_cvt_f32_f64_e32 v1, v[4:5]
	;; [unrolled: 1-line block ×6, first 2 shown]
	global_store_dwordx2 v[18:19], v[0:1], off
	global_store_dwordx2 v[20:21], v[4:5], off
	;; [unrolled: 1-line block ×3, first 2 shown]
	v_fma_f32 v0, v16, v9, -v17
	v_fmac_f32_e32 v43, v8, v16
	v_cvt_f64_f32_e32 v[0:1], v0
	s_waitcnt vmcnt(9)
	v_mul_f32_e32 v3, v11, v27
	v_cvt_f64_f32_e32 v[36:37], v43
	v_mul_f64 v[0:1], v[0:1], s[0:1]
	v_fmac_f32_e32 v3, v10, v26
	v_mul_f64 v[36:37], v[36:37], s[0:1]
	v_cvt_f32_f64_e32 v9, v[0:1]
	v_mad_u64_u32 v[0:1], s[4:5], s8, v42, v[24:25]
	v_cvt_f64_f32_e32 v[4:5], v3
	v_mul_f32_e32 v3, v10, v27
	v_cvt_f32_f64_e32 v8, v[36:37]
	v_add_u32_e32 v1, s2, v1
	v_mul_f64 v[4:5], v[4:5], s[0:1]
	v_fma_f32 v3, v26, v11, -v3
	global_store_dwordx2 v[0:1], v[8:9], off
	v_cvt_f32_f64_e32 v8, v[4:5]
	v_cvt_f64_f32_e32 v[4:5], v3
	v_mul_f64 v[4:5], v[4:5], s[0:1]
	v_add_u32_e32 v3, 0x800, v84
	v_cvt_f32_f64_e32 v9, v[4:5]
	ds_read2_b64 v[4:7], v3 offset0:94 offset1:164
	v_mad_u64_u32 v[0:1], s[4:5], s8, v42, v[0:1]
	v_add_u32_e32 v1, s2, v1
	global_store_dwordx2 v[0:1], v[8:9], off
	s_waitcnt vmcnt(10) lgkmcnt(0)
	v_mul_f32_e32 v3, v5, v29
	v_fmac_f32_e32 v3, v4, v28
	v_cvt_f64_f32_e32 v[8:9], v3
	v_mul_f32_e32 v3, v4, v29
	v_fma_f32 v3, v28, v5, -v3
	v_cvt_f64_f32_e32 v[4:5], v3
	v_mul_f64 v[8:9], v[8:9], s[0:1]
	v_mul_f64 v[4:5], v[4:5], s[0:1]
	v_cvt_f32_f64_e32 v8, v[8:9]
	v_cvt_f32_f64_e32 v9, v[4:5]
	v_mad_u64_u32 v[4:5], s[4:5], s8, v42, v[0:1]
	s_waitcnt vmcnt(9)
	v_mul_f32_e32 v0, v7, v31
	v_fmac_f32_e32 v0, v6, v30
	v_cvt_f64_f32_e32 v[0:1], v0
	v_add_u32_e32 v5, s2, v5
	v_mul_f64 v[0:1], v[0:1], s[0:1]
	global_store_dwordx2 v[4:5], v[8:9], off
	v_cvt_f32_f64_e32 v8, v[0:1]
	v_mul_f32_e32 v0, v6, v31
	v_fma_f32 v0, v30, v7, -v0
	v_cvt_f64_f32_e32 v[0:1], v0
	v_mul_f64 v[0:1], v[0:1], s[0:1]
	v_cvt_f32_f64_e32 v9, v[0:1]
	ds_read2_b64 v[0:3], v2 offset0:106 offset1:176
	v_mad_u64_u32 v[4:5], s[4:5], s8, v42, v[4:5]
	v_add_u32_e32 v5, s2, v5
	global_store_dwordx2 v[4:5], v[8:9], off
	s_waitcnt vmcnt(10) lgkmcnt(0)
	v_mul_f32_e32 v6, v1, v33
	v_fmac_f32_e32 v6, v0, v32
	v_mul_f32_e32 v0, v0, v33
	v_fma_f32 v0, v32, v1, -v0
	v_cvt_f64_f32_e32 v[6:7], v6
	v_cvt_f64_f32_e32 v[0:1], v0
	v_mul_f64 v[6:7], v[6:7], s[0:1]
	v_mul_f64 v[0:1], v[0:1], s[0:1]
	v_cvt_f32_f64_e32 v6, v[6:7]
	v_cvt_f32_f64_e32 v7, v[0:1]
	s_waitcnt vmcnt(9)
	v_mul_f32_e32 v0, v3, v35
	v_fmac_f32_e32 v0, v2, v34
	v_mad_u64_u32 v[4:5], s[4:5], s8, v42, v[4:5]
	v_cvt_f64_f32_e32 v[0:1], v0
	v_add_u32_e32 v5, s2, v5
	v_mul_f64 v[0:1], v[0:1], s[0:1]
	global_store_dwordx2 v[4:5], v[6:7], off
	v_cvt_f32_f64_e32 v6, v[0:1]
	v_mul_f32_e32 v0, v2, v35
	v_fma_f32 v0, v34, v3, -v0
	v_cvt_f64_f32_e32 v[0:1], v0
	v_mul_f64 v[0:1], v[0:1], s[0:1]
	v_cvt_f32_f64_e32 v7, v[0:1]
	v_add_u32_e32 v0, 0x1000, v84
	ds_read2_b64 v[0:3], v0 offset0:118 offset1:188
	v_mad_u64_u32 v[4:5], s[4:5], s8, v42, v[4:5]
	v_add_u32_e32 v5, s2, v5
	global_store_dwordx2 v[4:5], v[6:7], off
	s_waitcnt vmcnt(10) lgkmcnt(0)
	v_mul_f32_e32 v6, v1, v39
	v_fmac_f32_e32 v6, v0, v38
	v_mul_f32_e32 v0, v0, v39
	v_fma_f32 v0, v38, v1, -v0
	v_cvt_f64_f32_e32 v[6:7], v6
	v_cvt_f64_f32_e32 v[0:1], v0
	v_mul_f64 v[6:7], v[6:7], s[0:1]
	v_mul_f64 v[0:1], v[0:1], s[0:1]
	v_cvt_f32_f64_e32 v6, v[6:7]
	v_cvt_f32_f64_e32 v7, v[0:1]
	v_mad_u64_u32 v[0:1], s[4:5], s8, v42, v[4:5]
	s_waitcnt vmcnt(9)
	v_mul_f32_e32 v4, v3, v41
	v_fmac_f32_e32 v4, v2, v40
	v_mul_f32_e32 v2, v2, v41
	v_fma_f32 v2, v40, v3, -v2
	v_add_u32_e32 v1, s2, v1
	v_cvt_f64_f32_e32 v[4:5], v4
	v_cvt_f64_f32_e32 v[2:3], v2
	global_store_dwordx2 v[0:1], v[6:7], off
	v_mul_f64 v[4:5], v[4:5], s[0:1]
	v_mul_f64 v[2:3], v[2:3], s[0:1]
	v_mad_u64_u32 v[0:1], s[0:1], s8, v42, v[0:1]
	v_cvt_f32_f64_e32 v4, v[4:5]
	v_cvt_f32_f64_e32 v5, v[2:3]
	v_add_u32_e32 v1, s2, v1
	global_store_dwordx2 v[0:1], v[4:5], off
.LBB0_23:
	s_endpgm
	.section	.rodata,"a",@progbits
	.p2align	6, 0x0
	.amdhsa_kernel bluestein_single_back_len770_dim1_sp_op_CI_CI
		.amdhsa_group_segment_fixed_size 12320
		.amdhsa_private_segment_fixed_size 0
		.amdhsa_kernarg_size 104
		.amdhsa_user_sgpr_count 2
		.amdhsa_user_sgpr_dispatch_ptr 0
		.amdhsa_user_sgpr_queue_ptr 0
		.amdhsa_user_sgpr_kernarg_segment_ptr 1
		.amdhsa_user_sgpr_dispatch_id 0
		.amdhsa_user_sgpr_kernarg_preload_length 0
		.amdhsa_user_sgpr_kernarg_preload_offset 0
		.amdhsa_user_sgpr_private_segment_size 0
		.amdhsa_uses_dynamic_stack 0
		.amdhsa_enable_private_segment 0
		.amdhsa_system_sgpr_workgroup_id_x 1
		.amdhsa_system_sgpr_workgroup_id_y 0
		.amdhsa_system_sgpr_workgroup_id_z 0
		.amdhsa_system_sgpr_workgroup_info 0
		.amdhsa_system_vgpr_workitem_id 0
		.amdhsa_next_free_vgpr 120
		.amdhsa_next_free_sgpr 44
		.amdhsa_accum_offset 120
		.amdhsa_reserve_vcc 1
		.amdhsa_float_round_mode_32 0
		.amdhsa_float_round_mode_16_64 0
		.amdhsa_float_denorm_mode_32 3
		.amdhsa_float_denorm_mode_16_64 3
		.amdhsa_dx10_clamp 1
		.amdhsa_ieee_mode 1
		.amdhsa_fp16_overflow 0
		.amdhsa_tg_split 0
		.amdhsa_exception_fp_ieee_invalid_op 0
		.amdhsa_exception_fp_denorm_src 0
		.amdhsa_exception_fp_ieee_div_zero 0
		.amdhsa_exception_fp_ieee_overflow 0
		.amdhsa_exception_fp_ieee_underflow 0
		.amdhsa_exception_fp_ieee_inexact 0
		.amdhsa_exception_int_div_zero 0
	.end_amdhsa_kernel
	.text
.Lfunc_end0:
	.size	bluestein_single_back_len770_dim1_sp_op_CI_CI, .Lfunc_end0-bluestein_single_back_len770_dim1_sp_op_CI_CI
                                        ; -- End function
	.section	.AMDGPU.csdata,"",@progbits
; Kernel info:
; codeLenInByte = 11060
; NumSgprs: 50
; NumVgprs: 120
; NumAgprs: 0
; TotalNumVgprs: 120
; ScratchSize: 0
; MemoryBound: 0
; FloatMode: 240
; IeeeMode: 1
; LDSByteSize: 12320 bytes/workgroup (compile time only)
; SGPRBlocks: 6
; VGPRBlocks: 14
; NumSGPRsForWavesPerEU: 50
; NumVGPRsForWavesPerEU: 120
; AccumOffset: 120
; Occupancy: 4
; WaveLimiterHint : 1
; COMPUTE_PGM_RSRC2:SCRATCH_EN: 0
; COMPUTE_PGM_RSRC2:USER_SGPR: 2
; COMPUTE_PGM_RSRC2:TRAP_HANDLER: 0
; COMPUTE_PGM_RSRC2:TGID_X_EN: 1
; COMPUTE_PGM_RSRC2:TGID_Y_EN: 0
; COMPUTE_PGM_RSRC2:TGID_Z_EN: 0
; COMPUTE_PGM_RSRC2:TIDIG_COMP_CNT: 0
; COMPUTE_PGM_RSRC3_GFX90A:ACCUM_OFFSET: 29
; COMPUTE_PGM_RSRC3_GFX90A:TG_SPLIT: 0
	.text
	.p2alignl 6, 3212836864
	.fill 256, 4, 3212836864
	.type	__hip_cuid_ef3a85a5094e5fe2,@object ; @__hip_cuid_ef3a85a5094e5fe2
	.section	.bss,"aw",@nobits
	.globl	__hip_cuid_ef3a85a5094e5fe2
__hip_cuid_ef3a85a5094e5fe2:
	.byte	0                               ; 0x0
	.size	__hip_cuid_ef3a85a5094e5fe2, 1

	.ident	"AMD clang version 19.0.0git (https://github.com/RadeonOpenCompute/llvm-project roc-6.4.0 25133 c7fe45cf4b819c5991fe208aaa96edf142730f1d)"
	.section	".note.GNU-stack","",@progbits
	.addrsig
	.addrsig_sym __hip_cuid_ef3a85a5094e5fe2
	.amdgpu_metadata
---
amdhsa.kernels:
  - .agpr_count:     0
    .args:
      - .actual_access:  read_only
        .address_space:  global
        .offset:         0
        .size:           8
        .value_kind:     global_buffer
      - .actual_access:  read_only
        .address_space:  global
        .offset:         8
        .size:           8
        .value_kind:     global_buffer
      - .actual_access:  read_only
        .address_space:  global
        .offset:         16
        .size:           8
        .value_kind:     global_buffer
      - .actual_access:  read_only
        .address_space:  global
        .offset:         24
        .size:           8
        .value_kind:     global_buffer
      - .actual_access:  read_only
        .address_space:  global
        .offset:         32
        .size:           8
        .value_kind:     global_buffer
      - .offset:         40
        .size:           8
        .value_kind:     by_value
      - .address_space:  global
        .offset:         48
        .size:           8
        .value_kind:     global_buffer
      - .address_space:  global
        .offset:         56
        .size:           8
        .value_kind:     global_buffer
      - .address_space:  global
        .offset:         64
        .size:           8
        .value_kind:     global_buffer
      - .address_space:  global
        .offset:         72
        .size:           8
        .value_kind:     global_buffer
      - .offset:         80
        .size:           4
        .value_kind:     by_value
      - .address_space:  global
        .offset:         88
        .size:           8
        .value_kind:     global_buffer
      - .address_space:  global
        .offset:         96
        .size:           8
        .value_kind:     global_buffer
    .group_segment_fixed_size: 12320
    .kernarg_segment_align: 8
    .kernarg_segment_size: 104
    .language:       OpenCL C
    .language_version:
      - 2
      - 0
    .max_flat_workgroup_size: 220
    .name:           bluestein_single_back_len770_dim1_sp_op_CI_CI
    .private_segment_fixed_size: 0
    .sgpr_count:     50
    .sgpr_spill_count: 0
    .symbol:         bluestein_single_back_len770_dim1_sp_op_CI_CI.kd
    .uniform_work_group_size: 1
    .uses_dynamic_stack: false
    .vgpr_count:     120
    .vgpr_spill_count: 0
    .wavefront_size: 64
amdhsa.target:   amdgcn-amd-amdhsa--gfx950
amdhsa.version:
  - 1
  - 2
...

	.end_amdgpu_metadata
